;; amdgpu-corpus repo=ROCm/rocSOLVER kind=compiled arch=gfx1250 opt=O3
	.amdgcn_target "amdgcn-amd-amdhsa--gfx1250"
	.amdhsa_code_object_version 6
	.section	.text._ZN9rocsolver6v33100L16mfma_gemm_kernelI19rocblas_complex_numIdEiPKS3_PS3_S6_S6_EEv18rocblas_operation_S7_T0_S8_S8_T1_T2_lS8_S8_lT3_lS8_S8_lS9_T4_lS8_S8_l,"axG",@progbits,_ZN9rocsolver6v33100L16mfma_gemm_kernelI19rocblas_complex_numIdEiPKS3_PS3_S6_S6_EEv18rocblas_operation_S7_T0_S8_S8_T1_T2_lS8_S8_lT3_lS8_S8_lS9_T4_lS8_S8_l,comdat
	.globl	_ZN9rocsolver6v33100L16mfma_gemm_kernelI19rocblas_complex_numIdEiPKS3_PS3_S6_S6_EEv18rocblas_operation_S7_T0_S8_S8_T1_T2_lS8_S8_lT3_lS8_S8_lS9_T4_lS8_S8_l ; -- Begin function _ZN9rocsolver6v33100L16mfma_gemm_kernelI19rocblas_complex_numIdEiPKS3_PS3_S6_S6_EEv18rocblas_operation_S7_T0_S8_S8_T1_T2_lS8_S8_lT3_lS8_S8_lS9_T4_lS8_S8_l
	.p2align	8
	.type	_ZN9rocsolver6v33100L16mfma_gemm_kernelI19rocblas_complex_numIdEiPKS3_PS3_S6_S6_EEv18rocblas_operation_S7_T0_S8_S8_T1_T2_lS8_S8_lT3_lS8_S8_lS9_T4_lS8_S8_l,@function
_ZN9rocsolver6v33100L16mfma_gemm_kernelI19rocblas_complex_numIdEiPKS3_PS3_S6_S6_EEv18rocblas_operation_S7_T0_S8_S8_T1_T2_lS8_S8_lT3_lS8_S8_lS9_T4_lS8_S8_l: ; @_ZN9rocsolver6v33100L16mfma_gemm_kernelI19rocblas_complex_numIdEiPKS3_PS3_S6_S6_EEv18rocblas_operation_S7_T0_S8_S8_T1_T2_lS8_S8_lT3_lS8_S8_lS9_T4_lS8_S8_l
; %bb.0:
	s_endpgm
	.section	.rodata,"a",@progbits
	.p2align	6, 0x0
	.amdhsa_kernel _ZN9rocsolver6v33100L16mfma_gemm_kernelI19rocblas_complex_numIdEiPKS3_PS3_S6_S6_EEv18rocblas_operation_S7_T0_S8_S8_T1_T2_lS8_S8_lT3_lS8_S8_lS9_T4_lS8_S8_l
		.amdhsa_group_segment_fixed_size 0
		.amdhsa_private_segment_fixed_size 0
		.amdhsa_kernarg_size 136
		.amdhsa_user_sgpr_count 2
		.amdhsa_user_sgpr_dispatch_ptr 0
		.amdhsa_user_sgpr_queue_ptr 0
		.amdhsa_user_sgpr_kernarg_segment_ptr 1
		.amdhsa_user_sgpr_dispatch_id 0
		.amdhsa_user_sgpr_kernarg_preload_length 0
		.amdhsa_user_sgpr_kernarg_preload_offset 0
		.amdhsa_user_sgpr_private_segment_size 0
		.amdhsa_wavefront_size32 1
		.amdhsa_uses_dynamic_stack 0
		.amdhsa_enable_private_segment 0
		.amdhsa_system_sgpr_workgroup_id_x 1
		.amdhsa_system_sgpr_workgroup_id_y 0
		.amdhsa_system_sgpr_workgroup_id_z 0
		.amdhsa_system_sgpr_workgroup_info 0
		.amdhsa_system_vgpr_workitem_id 0
		.amdhsa_next_free_vgpr 1
		.amdhsa_next_free_sgpr 1
		.amdhsa_named_barrier_count 0
		.amdhsa_reserve_vcc 0
		.amdhsa_float_round_mode_32 0
		.amdhsa_float_round_mode_16_64 0
		.amdhsa_float_denorm_mode_32 3
		.amdhsa_float_denorm_mode_16_64 3
		.amdhsa_fp16_overflow 0
		.amdhsa_memory_ordered 1
		.amdhsa_forward_progress 1
		.amdhsa_inst_pref_size 1
		.amdhsa_round_robin_scheduling 0
		.amdhsa_exception_fp_ieee_invalid_op 0
		.amdhsa_exception_fp_denorm_src 0
		.amdhsa_exception_fp_ieee_div_zero 0
		.amdhsa_exception_fp_ieee_overflow 0
		.amdhsa_exception_fp_ieee_underflow 0
		.amdhsa_exception_fp_ieee_inexact 0
		.amdhsa_exception_int_div_zero 0
	.end_amdhsa_kernel
	.section	.text._ZN9rocsolver6v33100L16mfma_gemm_kernelI19rocblas_complex_numIdEiPKS3_PS3_S6_S6_EEv18rocblas_operation_S7_T0_S8_S8_T1_T2_lS8_S8_lT3_lS8_S8_lS9_T4_lS8_S8_l,"axG",@progbits,_ZN9rocsolver6v33100L16mfma_gemm_kernelI19rocblas_complex_numIdEiPKS3_PS3_S6_S6_EEv18rocblas_operation_S7_T0_S8_S8_T1_T2_lS8_S8_lT3_lS8_S8_lS9_T4_lS8_S8_l,comdat
.Lfunc_end0:
	.size	_ZN9rocsolver6v33100L16mfma_gemm_kernelI19rocblas_complex_numIdEiPKS3_PS3_S6_S6_EEv18rocblas_operation_S7_T0_S8_S8_T1_T2_lS8_S8_lT3_lS8_S8_lS9_T4_lS8_S8_l, .Lfunc_end0-_ZN9rocsolver6v33100L16mfma_gemm_kernelI19rocblas_complex_numIdEiPKS3_PS3_S6_S6_EEv18rocblas_operation_S7_T0_S8_S8_T1_T2_lS8_S8_lT3_lS8_S8_lS9_T4_lS8_S8_l
                                        ; -- End function
	.set _ZN9rocsolver6v33100L16mfma_gemm_kernelI19rocblas_complex_numIdEiPKS3_PS3_S6_S6_EEv18rocblas_operation_S7_T0_S8_S8_T1_T2_lS8_S8_lT3_lS8_S8_lS9_T4_lS8_S8_l.num_vgpr, 0
	.set _ZN9rocsolver6v33100L16mfma_gemm_kernelI19rocblas_complex_numIdEiPKS3_PS3_S6_S6_EEv18rocblas_operation_S7_T0_S8_S8_T1_T2_lS8_S8_lT3_lS8_S8_lS9_T4_lS8_S8_l.num_agpr, 0
	.set _ZN9rocsolver6v33100L16mfma_gemm_kernelI19rocblas_complex_numIdEiPKS3_PS3_S6_S6_EEv18rocblas_operation_S7_T0_S8_S8_T1_T2_lS8_S8_lT3_lS8_S8_lS9_T4_lS8_S8_l.numbered_sgpr, 0
	.set _ZN9rocsolver6v33100L16mfma_gemm_kernelI19rocblas_complex_numIdEiPKS3_PS3_S6_S6_EEv18rocblas_operation_S7_T0_S8_S8_T1_T2_lS8_S8_lT3_lS8_S8_lS9_T4_lS8_S8_l.num_named_barrier, 0
	.set _ZN9rocsolver6v33100L16mfma_gemm_kernelI19rocblas_complex_numIdEiPKS3_PS3_S6_S6_EEv18rocblas_operation_S7_T0_S8_S8_T1_T2_lS8_S8_lT3_lS8_S8_lS9_T4_lS8_S8_l.private_seg_size, 0
	.set _ZN9rocsolver6v33100L16mfma_gemm_kernelI19rocblas_complex_numIdEiPKS3_PS3_S6_S6_EEv18rocblas_operation_S7_T0_S8_S8_T1_T2_lS8_S8_lT3_lS8_S8_lS9_T4_lS8_S8_l.uses_vcc, 0
	.set _ZN9rocsolver6v33100L16mfma_gemm_kernelI19rocblas_complex_numIdEiPKS3_PS3_S6_S6_EEv18rocblas_operation_S7_T0_S8_S8_T1_T2_lS8_S8_lT3_lS8_S8_lS9_T4_lS8_S8_l.uses_flat_scratch, 0
	.set _ZN9rocsolver6v33100L16mfma_gemm_kernelI19rocblas_complex_numIdEiPKS3_PS3_S6_S6_EEv18rocblas_operation_S7_T0_S8_S8_T1_T2_lS8_S8_lT3_lS8_S8_lS9_T4_lS8_S8_l.has_dyn_sized_stack, 0
	.set _ZN9rocsolver6v33100L16mfma_gemm_kernelI19rocblas_complex_numIdEiPKS3_PS3_S6_S6_EEv18rocblas_operation_S7_T0_S8_S8_T1_T2_lS8_S8_lT3_lS8_S8_lS9_T4_lS8_S8_l.has_recursion, 0
	.set _ZN9rocsolver6v33100L16mfma_gemm_kernelI19rocblas_complex_numIdEiPKS3_PS3_S6_S6_EEv18rocblas_operation_S7_T0_S8_S8_T1_T2_lS8_S8_lT3_lS8_S8_lS9_T4_lS8_S8_l.has_indirect_call, 0
	.section	.AMDGPU.csdata,"",@progbits
; Kernel info:
; codeLenInByte = 4
; TotalNumSgprs: 0
; NumVgprs: 0
; ScratchSize: 0
; MemoryBound: 0
; FloatMode: 240
; IeeeMode: 1
; LDSByteSize: 0 bytes/workgroup (compile time only)
; SGPRBlocks: 0
; VGPRBlocks: 0
; NumSGPRsForWavesPerEU: 1
; NumVGPRsForWavesPerEU: 1
; NamedBarCnt: 0
; Occupancy: 16
; WaveLimiterHint : 0
; COMPUTE_PGM_RSRC2:SCRATCH_EN: 0
; COMPUTE_PGM_RSRC2:USER_SGPR: 2
; COMPUTE_PGM_RSRC2:TRAP_HANDLER: 0
; COMPUTE_PGM_RSRC2:TGID_X_EN: 1
; COMPUTE_PGM_RSRC2:TGID_Y_EN: 0
; COMPUTE_PGM_RSRC2:TGID_Z_EN: 0
; COMPUTE_PGM_RSRC2:TIDIG_COMP_CNT: 0
	.section	.text._ZN9rocsolver6v33100L16mfma_gemm_kernelI19rocblas_complex_numIdEiS3_PS3_S4_S4_EEv18rocblas_operation_S5_T0_S6_S6_T1_T2_lS6_S6_lT3_lS6_S6_lS7_T4_lS6_S6_l,"axG",@progbits,_ZN9rocsolver6v33100L16mfma_gemm_kernelI19rocblas_complex_numIdEiS3_PS3_S4_S4_EEv18rocblas_operation_S5_T0_S6_S6_T1_T2_lS6_S6_lT3_lS6_S6_lS7_T4_lS6_S6_l,comdat
	.globl	_ZN9rocsolver6v33100L16mfma_gemm_kernelI19rocblas_complex_numIdEiS3_PS3_S4_S4_EEv18rocblas_operation_S5_T0_S6_S6_T1_T2_lS6_S6_lT3_lS6_S6_lS7_T4_lS6_S6_l ; -- Begin function _ZN9rocsolver6v33100L16mfma_gemm_kernelI19rocblas_complex_numIdEiS3_PS3_S4_S4_EEv18rocblas_operation_S5_T0_S6_S6_T1_T2_lS6_S6_lT3_lS6_S6_lS7_T4_lS6_S6_l
	.p2align	8
	.type	_ZN9rocsolver6v33100L16mfma_gemm_kernelI19rocblas_complex_numIdEiS3_PS3_S4_S4_EEv18rocblas_operation_S5_T0_S6_S6_T1_T2_lS6_S6_lT3_lS6_S6_lS7_T4_lS6_S6_l,@function
_ZN9rocsolver6v33100L16mfma_gemm_kernelI19rocblas_complex_numIdEiS3_PS3_S4_S4_EEv18rocblas_operation_S5_T0_S6_S6_T1_T2_lS6_S6_lT3_lS6_S6_lS7_T4_lS6_S6_l: ; @_ZN9rocsolver6v33100L16mfma_gemm_kernelI19rocblas_complex_numIdEiS3_PS3_S4_S4_EEv18rocblas_operation_S5_T0_S6_S6_T1_T2_lS6_S6_lT3_lS6_S6_lS7_T4_lS6_S6_l
; %bb.0:
	s_endpgm
	.section	.rodata,"a",@progbits
	.p2align	6, 0x0
	.amdhsa_kernel _ZN9rocsolver6v33100L16mfma_gemm_kernelI19rocblas_complex_numIdEiS3_PS3_S4_S4_EEv18rocblas_operation_S5_T0_S6_S6_T1_T2_lS6_S6_lT3_lS6_S6_lS7_T4_lS6_S6_l
		.amdhsa_group_segment_fixed_size 0
		.amdhsa_private_segment_fixed_size 0
		.amdhsa_kernarg_size 152
		.amdhsa_user_sgpr_count 2
		.amdhsa_user_sgpr_dispatch_ptr 0
		.amdhsa_user_sgpr_queue_ptr 0
		.amdhsa_user_sgpr_kernarg_segment_ptr 1
		.amdhsa_user_sgpr_dispatch_id 0
		.amdhsa_user_sgpr_kernarg_preload_length 0
		.amdhsa_user_sgpr_kernarg_preload_offset 0
		.amdhsa_user_sgpr_private_segment_size 0
		.amdhsa_wavefront_size32 1
		.amdhsa_uses_dynamic_stack 0
		.amdhsa_enable_private_segment 0
		.amdhsa_system_sgpr_workgroup_id_x 1
		.amdhsa_system_sgpr_workgroup_id_y 0
		.amdhsa_system_sgpr_workgroup_id_z 0
		.amdhsa_system_sgpr_workgroup_info 0
		.amdhsa_system_vgpr_workitem_id 0
		.amdhsa_next_free_vgpr 1
		.amdhsa_next_free_sgpr 1
		.amdhsa_named_barrier_count 0
		.amdhsa_reserve_vcc 0
		.amdhsa_float_round_mode_32 0
		.amdhsa_float_round_mode_16_64 0
		.amdhsa_float_denorm_mode_32 3
		.amdhsa_float_denorm_mode_16_64 3
		.amdhsa_fp16_overflow 0
		.amdhsa_memory_ordered 1
		.amdhsa_forward_progress 1
		.amdhsa_inst_pref_size 1
		.amdhsa_round_robin_scheduling 0
		.amdhsa_exception_fp_ieee_invalid_op 0
		.amdhsa_exception_fp_denorm_src 0
		.amdhsa_exception_fp_ieee_div_zero 0
		.amdhsa_exception_fp_ieee_overflow 0
		.amdhsa_exception_fp_ieee_underflow 0
		.amdhsa_exception_fp_ieee_inexact 0
		.amdhsa_exception_int_div_zero 0
	.end_amdhsa_kernel
	.section	.text._ZN9rocsolver6v33100L16mfma_gemm_kernelI19rocblas_complex_numIdEiS3_PS3_S4_S4_EEv18rocblas_operation_S5_T0_S6_S6_T1_T2_lS6_S6_lT3_lS6_S6_lS7_T4_lS6_S6_l,"axG",@progbits,_ZN9rocsolver6v33100L16mfma_gemm_kernelI19rocblas_complex_numIdEiS3_PS3_S4_S4_EEv18rocblas_operation_S5_T0_S6_S6_T1_T2_lS6_S6_lT3_lS6_S6_lS7_T4_lS6_S6_l,comdat
.Lfunc_end1:
	.size	_ZN9rocsolver6v33100L16mfma_gemm_kernelI19rocblas_complex_numIdEiS3_PS3_S4_S4_EEv18rocblas_operation_S5_T0_S6_S6_T1_T2_lS6_S6_lT3_lS6_S6_lS7_T4_lS6_S6_l, .Lfunc_end1-_ZN9rocsolver6v33100L16mfma_gemm_kernelI19rocblas_complex_numIdEiS3_PS3_S4_S4_EEv18rocblas_operation_S5_T0_S6_S6_T1_T2_lS6_S6_lT3_lS6_S6_lS7_T4_lS6_S6_l
                                        ; -- End function
	.set _ZN9rocsolver6v33100L16mfma_gemm_kernelI19rocblas_complex_numIdEiS3_PS3_S4_S4_EEv18rocblas_operation_S5_T0_S6_S6_T1_T2_lS6_S6_lT3_lS6_S6_lS7_T4_lS6_S6_l.num_vgpr, 0
	.set _ZN9rocsolver6v33100L16mfma_gemm_kernelI19rocblas_complex_numIdEiS3_PS3_S4_S4_EEv18rocblas_operation_S5_T0_S6_S6_T1_T2_lS6_S6_lT3_lS6_S6_lS7_T4_lS6_S6_l.num_agpr, 0
	.set _ZN9rocsolver6v33100L16mfma_gemm_kernelI19rocblas_complex_numIdEiS3_PS3_S4_S4_EEv18rocblas_operation_S5_T0_S6_S6_T1_T2_lS6_S6_lT3_lS6_S6_lS7_T4_lS6_S6_l.numbered_sgpr, 0
	.set _ZN9rocsolver6v33100L16mfma_gemm_kernelI19rocblas_complex_numIdEiS3_PS3_S4_S4_EEv18rocblas_operation_S5_T0_S6_S6_T1_T2_lS6_S6_lT3_lS6_S6_lS7_T4_lS6_S6_l.num_named_barrier, 0
	.set _ZN9rocsolver6v33100L16mfma_gemm_kernelI19rocblas_complex_numIdEiS3_PS3_S4_S4_EEv18rocblas_operation_S5_T0_S6_S6_T1_T2_lS6_S6_lT3_lS6_S6_lS7_T4_lS6_S6_l.private_seg_size, 0
	.set _ZN9rocsolver6v33100L16mfma_gemm_kernelI19rocblas_complex_numIdEiS3_PS3_S4_S4_EEv18rocblas_operation_S5_T0_S6_S6_T1_T2_lS6_S6_lT3_lS6_S6_lS7_T4_lS6_S6_l.uses_vcc, 0
	.set _ZN9rocsolver6v33100L16mfma_gemm_kernelI19rocblas_complex_numIdEiS3_PS3_S4_S4_EEv18rocblas_operation_S5_T0_S6_S6_T1_T2_lS6_S6_lT3_lS6_S6_lS7_T4_lS6_S6_l.uses_flat_scratch, 0
	.set _ZN9rocsolver6v33100L16mfma_gemm_kernelI19rocblas_complex_numIdEiS3_PS3_S4_S4_EEv18rocblas_operation_S5_T0_S6_S6_T1_T2_lS6_S6_lT3_lS6_S6_lS7_T4_lS6_S6_l.has_dyn_sized_stack, 0
	.set _ZN9rocsolver6v33100L16mfma_gemm_kernelI19rocblas_complex_numIdEiS3_PS3_S4_S4_EEv18rocblas_operation_S5_T0_S6_S6_T1_T2_lS6_S6_lT3_lS6_S6_lS7_T4_lS6_S6_l.has_recursion, 0
	.set _ZN9rocsolver6v33100L16mfma_gemm_kernelI19rocblas_complex_numIdEiS3_PS3_S4_S4_EEv18rocblas_operation_S5_T0_S6_S6_T1_T2_lS6_S6_lT3_lS6_S6_lS7_T4_lS6_S6_l.has_indirect_call, 0
	.section	.AMDGPU.csdata,"",@progbits
; Kernel info:
; codeLenInByte = 4
; TotalNumSgprs: 0
; NumVgprs: 0
; ScratchSize: 0
; MemoryBound: 0
; FloatMode: 240
; IeeeMode: 1
; LDSByteSize: 0 bytes/workgroup (compile time only)
; SGPRBlocks: 0
; VGPRBlocks: 0
; NumSGPRsForWavesPerEU: 1
; NumVGPRsForWavesPerEU: 1
; NamedBarCnt: 0
; Occupancy: 16
; WaveLimiterHint : 0
; COMPUTE_PGM_RSRC2:SCRATCH_EN: 0
; COMPUTE_PGM_RSRC2:USER_SGPR: 2
; COMPUTE_PGM_RSRC2:TRAP_HANDLER: 0
; COMPUTE_PGM_RSRC2:TGID_X_EN: 1
; COMPUTE_PGM_RSRC2:TGID_Y_EN: 0
; COMPUTE_PGM_RSRC2:TGID_Z_EN: 0
; COMPUTE_PGM_RSRC2:TIDIG_COMP_CNT: 0
	.section	.text._ZN9rocsolver6v33100L11gemm_kernelI19rocblas_complex_numIdEiPKS3_PS3_S6_S6_EEvT0_S7_S7_T1_bT2_lS7_S7_lbT3_lS7_S7_lS8_T4_lS7_S7_l,"axG",@progbits,_ZN9rocsolver6v33100L11gemm_kernelI19rocblas_complex_numIdEiPKS3_PS3_S6_S6_EEvT0_S7_S7_T1_bT2_lS7_S7_lbT3_lS7_S7_lS8_T4_lS7_S7_l,comdat
	.globl	_ZN9rocsolver6v33100L11gemm_kernelI19rocblas_complex_numIdEiPKS3_PS3_S6_S6_EEvT0_S7_S7_T1_bT2_lS7_S7_lbT3_lS7_S7_lS8_T4_lS7_S7_l ; -- Begin function _ZN9rocsolver6v33100L11gemm_kernelI19rocblas_complex_numIdEiPKS3_PS3_S6_S6_EEvT0_S7_S7_T1_bT2_lS7_S7_lbT3_lS7_S7_lS8_T4_lS7_S7_l
	.p2align	8
	.type	_ZN9rocsolver6v33100L11gemm_kernelI19rocblas_complex_numIdEiPKS3_PS3_S6_S6_EEvT0_S7_S7_T1_bT2_lS7_S7_lbT3_lS7_S7_lS8_T4_lS7_S7_l,@function
_ZN9rocsolver6v33100L11gemm_kernelI19rocblas_complex_numIdEiPKS3_PS3_S6_S6_EEvT0_S7_S7_T1_bT2_lS7_S7_lbT3_lS7_S7_lS8_T4_lS7_S7_l: ; @_ZN9rocsolver6v33100L11gemm_kernelI19rocblas_complex_numIdEiPKS3_PS3_S6_S6_EEvT0_S7_S7_T1_bT2_lS7_S7_lbT3_lS7_S7_lS8_T4_lS7_S7_l
; %bb.0:
	s_clause 0x1
	s_load_b32 s2, s[0:1], 0x9c
	s_load_b96 s[20:22], s[0:1], 0x0
	s_bfe_u32 s5, ttmp6, 0x40010
	s_bfe_u32 s8, ttmp6, 0x4000c
	s_and_b32 s4, ttmp7, 0xffff
	s_add_co_i32 s5, s5, 1
	s_add_co_i32 s8, s8, 1
	s_bfe_u32 s6, ttmp6, 0x40004
	s_and_b32 s7, ttmp6, 15
	s_mul_i32 s5, s4, s5
	s_mul_i32 s8, ttmp9, s8
	s_getreg_b32 s3, hwreg(HW_REG_IB_STS2, 6, 4)
	v_and_b32_e32 v1, 0x3ff, v0
	v_bfe_u32 v0, v0, 10, 10
	s_add_co_i32 s6, s6, s5
	s_add_co_i32 s7, s7, s8
	s_wait_kmcnt 0x0
	s_lshr_b32 s5, s2, 16
	s_and_b32 s2, s2, 0xffff
	s_cmp_eq_u32 s3, 0
	s_cselect_b32 s7, ttmp9, s7
	s_cselect_b32 s4, s4, s6
	v_mad_u32 v8, s7, s2, v1
	v_mad_u32 v9, s4, s5, v0
	s_delay_alu instid0(VALU_DEP_2) | instskip(NEXT) | instid1(VALU_DEP_2)
	v_cmp_gt_i32_e32 vcc_lo, s20, v8
	v_cmp_gt_i32_e64 s2, s21, v9
	s_mov_b32 s21, 0
	s_and_b32 s2, vcc_lo, s2
	s_delay_alu instid0(SALU_CYCLE_1)
	s_and_saveexec_b32 s4, s2
	s_cbranch_execz .LBB2_6
; %bb.1:
	s_clause 0x1
	s_load_b64 s[24:25], s[0:1], 0x10
	s_load_b256 s[4:11], s[0:1], 0x60
	s_bfe_u32 s2, ttmp6, 0x40014
	s_lshr_b32 s12, ttmp7, 16
	s_add_co_i32 s2, s2, 1
	s_bfe_u32 s13, ttmp6, 0x40008
	s_mul_i32 s2, s12, s2
	s_delay_alu instid0(SALU_CYCLE_1)
	s_add_co_i32 s13, s13, s2
	s_cmp_eq_u32 s3, 0
	s_cselect_b32 s20, s12, s13
	s_cmp_lt_i32 s22, 1
	s_cbranch_scc1 .LBB2_4
; %bb.2:
	s_clause 0x4
	s_load_b32 s2, s[0:1], 0x18
	s_load_b256 s[12:19], s[0:1], 0x20
	s_load_b64 s[26:27], s[0:1], 0x58
	s_load_b32 s3, s[0:1], 0x40
	s_load_b128 s[28:31], s[0:1], 0x48
	s_wait_kmcnt 0x0
	s_mul_u64 s[4:5], s[4:5], s[20:21]
	s_bitcmp1_b32 s2, 0
	v_mul_lo_u32 v0, v8, s16
	v_mul_lo_u32 v2, v9, s27
	s_cselect_b32 vcc_lo, -1, 0
	s_bitcmp1_b32 s3, 0
	s_mul_u64 s[18:19], s[18:19], s[20:21]
	s_cselect_b32 s2, -1, 0
	s_lshl_b64 s[18:19], s[18:19], 4
	s_lshl_b64 s[14:15], s[14:15], 4
	;; [unrolled: 1-line block ×4, first 2 shown]
	s_add_nc_u64 s[14:15], s[18:19], s[14:15]
	s_delay_alu instid0(VALU_DEP_1) | instskip(SKIP_3) | instid1(VALU_DEP_1)
	v_dual_ashrrev_i32 v1, 31, v0 :: v_dual_ashrrev_i32 v3, 31, v2
	s_add_nc_u64 s[4:5], s[4:5], s[30:31]
	s_add_nc_u64 s[12:13], s[12:13], s[14:15]
	;; [unrolled: 1-line block ×3, first 2 shown]
	v_lshl_add_u64 v[4:5], v[0:1], 4, s[12:13]
	v_lshl_add_u64 v[2:3], v[2:3], 4, s[4:5]
	v_mov_b64_e32 v[0:1], 0
	s_ashr_i32 s5, s17, 31
	s_mov_b32 s4, s17
	v_add_nc_u64_e32 v[4:5], 8, v[4:5]
	v_add_nc_u64_e32 v[6:7], 8, v[2:3]
	v_mov_b64_e32 v[2:3], 0
	s_ashr_i32 s27, s26, 31
	s_lshl_b64 s[4:5], s[4:5], 4
	s_lshl_b64 s[12:13], s[26:27], 4
.LBB2_3:                                ; =>This Inner Loop Header: Depth=1
	global_load_b128 v[10:13], v[4:5], off offset:-8
	global_load_b128 v[14:17], v[6:7], off offset:-8
	s_wait_xcnt 0x1
	v_add_nc_u64_e32 v[4:5], s[4:5], v[4:5]
	s_wait_xcnt 0x0
	v_add_nc_u64_e32 v[6:7], s[12:13], v[6:7]
	s_add_co_i32 s22, s22, -1
	s_delay_alu instid0(SALU_CYCLE_1) | instskip(SKIP_4) | instid1(VALU_DEP_2)
	s_cmp_eq_u32 s22, 0
	s_wait_loadcnt 0x1
	v_xor_b32_e32 v18, 0x80000000, v13
	s_wait_loadcnt 0x0
	v_xor_b32_e32 v19, 0x80000000, v17
	v_cndmask_b32_e32 v13, v13, v18, vcc_lo
	s_delay_alu instid0(VALU_DEP_2) | instskip(NEXT) | instid1(VALU_DEP_1)
	v_cndmask_b32_e64 v17, v17, v19, s2
	v_mul_f64_e32 v[18:19], v[12:13], v[16:17]
	v_mul_f64_e32 v[12:13], v[12:13], v[14:15]
	s_delay_alu instid0(VALU_DEP_2) | instskip(NEXT) | instid1(VALU_DEP_2)
	v_fma_f64 v[14:15], v[10:11], v[14:15], -v[18:19]
	v_fmac_f64_e32 v[12:13], v[10:11], v[16:17]
	s_delay_alu instid0(VALU_DEP_2) | instskip(NEXT) | instid1(VALU_DEP_2)
	v_add_f64_e32 v[2:3], v[2:3], v[14:15]
	v_add_f64_e32 v[0:1], v[0:1], v[12:13]
	s_cbranch_scc0 .LBB2_3
	s_branch .LBB2_5
.LBB2_4:
	v_mov_b64_e32 v[0:1], 0
	v_mov_b64_e32 v[2:3], 0
.LBB2_5:
	s_wait_kmcnt 0x0
	s_load_b128 s[16:19], s[24:25], 0x0
	s_load_b128 s[12:15], s[6:7], 0x0
                                        ; kill: killed $sgpr6_sgpr7
                                        ; kill: killed $sgpr24_sgpr25
	s_nop 0
	s_load_b128 s[0:3], s[0:1], 0x80
	s_wait_kmcnt 0x0
	s_delay_alu instid0(VALU_DEP_1) | instskip(SKIP_1) | instid1(VALU_DEP_1)
	v_mul_f64_e32 v[10:11], s[16:17], v[0:1]
	v_mul_lo_u32 v4, v8, s0
	v_mad_u32 v12, v9, s1, v4
	s_mul_u64 s[0:1], s[2:3], s[20:21]
	s_lshl_b64 s[2:3], s[10:11], 4
	s_lshl_b64 s[0:1], s[0:1], 4
	v_mul_f64_e32 v[8:9], s[18:19], v[0:1]
	s_add_nc_u64 s[0:1], s[8:9], s[0:1]
	s_delay_alu instid0(SALU_CYCLE_1)
	s_add_nc_u64 s[0:1], s[0:1], s[2:3]
	global_load_b128 v[4:7], v12, s[0:1] scale_offset
	v_fmac_f64_e32 v[10:11], s[18:19], v[2:3]
	v_fma_f64 v[8:9], s[16:17], v[2:3], -v[8:9]
	s_wait_loadcnt 0x0
	v_mul_f64_e32 v[0:1], s[14:15], v[6:7]
	v_mul_f64_e32 v[6:7], s[12:13], v[6:7]
	s_delay_alu instid0(VALU_DEP_2) | instskip(NEXT) | instid1(VALU_DEP_2)
	v_fma_f64 v[0:1], s[12:13], v[4:5], -v[0:1]
	v_fmac_f64_e32 v[6:7], s[14:15], v[4:5]
	s_delay_alu instid0(VALU_DEP_2) | instskip(NEXT) | instid1(VALU_DEP_2)
	v_add_f64_e32 v[0:1], v[8:9], v[0:1]
	v_add_f64_e32 v[2:3], v[10:11], v[6:7]
	global_store_b128 v12, v[0:3], s[0:1] scale_offset
.LBB2_6:
	s_endpgm
	.section	.rodata,"a",@progbits
	.p2align	6, 0x0
	.amdhsa_kernel _ZN9rocsolver6v33100L11gemm_kernelI19rocblas_complex_numIdEiPKS3_PS3_S6_S6_EEvT0_S7_S7_T1_bT2_lS7_S7_lbT3_lS7_S7_lS8_T4_lS7_S7_l
		.amdhsa_group_segment_fixed_size 0
		.amdhsa_private_segment_fixed_size 0
		.amdhsa_kernarg_size 400
		.amdhsa_user_sgpr_count 2
		.amdhsa_user_sgpr_dispatch_ptr 0
		.amdhsa_user_sgpr_queue_ptr 0
		.amdhsa_user_sgpr_kernarg_segment_ptr 1
		.amdhsa_user_sgpr_dispatch_id 0
		.amdhsa_user_sgpr_kernarg_preload_length 0
		.amdhsa_user_sgpr_kernarg_preload_offset 0
		.amdhsa_user_sgpr_private_segment_size 0
		.amdhsa_wavefront_size32 1
		.amdhsa_uses_dynamic_stack 0
		.amdhsa_enable_private_segment 0
		.amdhsa_system_sgpr_workgroup_id_x 1
		.amdhsa_system_sgpr_workgroup_id_y 1
		.amdhsa_system_sgpr_workgroup_id_z 1
		.amdhsa_system_sgpr_workgroup_info 0
		.amdhsa_system_vgpr_workitem_id 1
		.amdhsa_next_free_vgpr 20
		.amdhsa_next_free_sgpr 32
		.amdhsa_named_barrier_count 0
		.amdhsa_reserve_vcc 1
		.amdhsa_float_round_mode_32 0
		.amdhsa_float_round_mode_16_64 0
		.amdhsa_float_denorm_mode_32 3
		.amdhsa_float_denorm_mode_16_64 3
		.amdhsa_fp16_overflow 0
		.amdhsa_memory_ordered 1
		.amdhsa_forward_progress 1
		.amdhsa_inst_pref_size 6
		.amdhsa_round_robin_scheduling 0
		.amdhsa_exception_fp_ieee_invalid_op 0
		.amdhsa_exception_fp_denorm_src 0
		.amdhsa_exception_fp_ieee_div_zero 0
		.amdhsa_exception_fp_ieee_overflow 0
		.amdhsa_exception_fp_ieee_underflow 0
		.amdhsa_exception_fp_ieee_inexact 0
		.amdhsa_exception_int_div_zero 0
	.end_amdhsa_kernel
	.section	.text._ZN9rocsolver6v33100L11gemm_kernelI19rocblas_complex_numIdEiPKS3_PS3_S6_S6_EEvT0_S7_S7_T1_bT2_lS7_S7_lbT3_lS7_S7_lS8_T4_lS7_S7_l,"axG",@progbits,_ZN9rocsolver6v33100L11gemm_kernelI19rocblas_complex_numIdEiPKS3_PS3_S6_S6_EEvT0_S7_S7_T1_bT2_lS7_S7_lbT3_lS7_S7_lS8_T4_lS7_S7_l,comdat
.Lfunc_end2:
	.size	_ZN9rocsolver6v33100L11gemm_kernelI19rocblas_complex_numIdEiPKS3_PS3_S6_S6_EEvT0_S7_S7_T1_bT2_lS7_S7_lbT3_lS7_S7_lS8_T4_lS7_S7_l, .Lfunc_end2-_ZN9rocsolver6v33100L11gemm_kernelI19rocblas_complex_numIdEiPKS3_PS3_S6_S6_EEvT0_S7_S7_T1_bT2_lS7_S7_lbT3_lS7_S7_lS8_T4_lS7_S7_l
                                        ; -- End function
	.set _ZN9rocsolver6v33100L11gemm_kernelI19rocblas_complex_numIdEiPKS3_PS3_S6_S6_EEvT0_S7_S7_T1_bT2_lS7_S7_lbT3_lS7_S7_lS8_T4_lS7_S7_l.num_vgpr, 20
	.set _ZN9rocsolver6v33100L11gemm_kernelI19rocblas_complex_numIdEiPKS3_PS3_S6_S6_EEvT0_S7_S7_T1_bT2_lS7_S7_lbT3_lS7_S7_lS8_T4_lS7_S7_l.num_agpr, 0
	.set _ZN9rocsolver6v33100L11gemm_kernelI19rocblas_complex_numIdEiPKS3_PS3_S6_S6_EEvT0_S7_S7_T1_bT2_lS7_S7_lbT3_lS7_S7_lS8_T4_lS7_S7_l.numbered_sgpr, 32
	.set _ZN9rocsolver6v33100L11gemm_kernelI19rocblas_complex_numIdEiPKS3_PS3_S6_S6_EEvT0_S7_S7_T1_bT2_lS7_S7_lbT3_lS7_S7_lS8_T4_lS7_S7_l.num_named_barrier, 0
	.set _ZN9rocsolver6v33100L11gemm_kernelI19rocblas_complex_numIdEiPKS3_PS3_S6_S6_EEvT0_S7_S7_T1_bT2_lS7_S7_lbT3_lS7_S7_lS8_T4_lS7_S7_l.private_seg_size, 0
	.set _ZN9rocsolver6v33100L11gemm_kernelI19rocblas_complex_numIdEiPKS3_PS3_S6_S6_EEvT0_S7_S7_T1_bT2_lS7_S7_lbT3_lS7_S7_lS8_T4_lS7_S7_l.uses_vcc, 1
	.set _ZN9rocsolver6v33100L11gemm_kernelI19rocblas_complex_numIdEiPKS3_PS3_S6_S6_EEvT0_S7_S7_T1_bT2_lS7_S7_lbT3_lS7_S7_lS8_T4_lS7_S7_l.uses_flat_scratch, 0
	.set _ZN9rocsolver6v33100L11gemm_kernelI19rocblas_complex_numIdEiPKS3_PS3_S6_S6_EEvT0_S7_S7_T1_bT2_lS7_S7_lbT3_lS7_S7_lS8_T4_lS7_S7_l.has_dyn_sized_stack, 0
	.set _ZN9rocsolver6v33100L11gemm_kernelI19rocblas_complex_numIdEiPKS3_PS3_S6_S6_EEvT0_S7_S7_T1_bT2_lS7_S7_lbT3_lS7_S7_lS8_T4_lS7_S7_l.has_recursion, 0
	.set _ZN9rocsolver6v33100L11gemm_kernelI19rocblas_complex_numIdEiPKS3_PS3_S6_S6_EEvT0_S7_S7_T1_bT2_lS7_S7_lbT3_lS7_S7_lS8_T4_lS7_S7_l.has_indirect_call, 0
	.section	.AMDGPU.csdata,"",@progbits
; Kernel info:
; codeLenInByte = 752
; TotalNumSgprs: 34
; NumVgprs: 20
; ScratchSize: 0
; MemoryBound: 0
; FloatMode: 240
; IeeeMode: 1
; LDSByteSize: 0 bytes/workgroup (compile time only)
; SGPRBlocks: 0
; VGPRBlocks: 1
; NumSGPRsForWavesPerEU: 34
; NumVGPRsForWavesPerEU: 20
; NamedBarCnt: 0
; Occupancy: 16
; WaveLimiterHint : 1
; COMPUTE_PGM_RSRC2:SCRATCH_EN: 0
; COMPUTE_PGM_RSRC2:USER_SGPR: 2
; COMPUTE_PGM_RSRC2:TRAP_HANDLER: 0
; COMPUTE_PGM_RSRC2:TGID_X_EN: 1
; COMPUTE_PGM_RSRC2:TGID_Y_EN: 1
; COMPUTE_PGM_RSRC2:TGID_Z_EN: 1
; COMPUTE_PGM_RSRC2:TIDIG_COMP_CNT: 1
	.section	.text._ZN9rocsolver6v33100L11gemm_kernelI19rocblas_complex_numIdEiS3_PS3_S4_S4_EEvT0_S5_S5_T1_bT2_lS5_S5_lbT3_lS5_S5_lS6_T4_lS5_S5_l,"axG",@progbits,_ZN9rocsolver6v33100L11gemm_kernelI19rocblas_complex_numIdEiS3_PS3_S4_S4_EEvT0_S5_S5_T1_bT2_lS5_S5_lbT3_lS5_S5_lS6_T4_lS5_S5_l,comdat
	.globl	_ZN9rocsolver6v33100L11gemm_kernelI19rocblas_complex_numIdEiS3_PS3_S4_S4_EEvT0_S5_S5_T1_bT2_lS5_S5_lbT3_lS5_S5_lS6_T4_lS5_S5_l ; -- Begin function _ZN9rocsolver6v33100L11gemm_kernelI19rocblas_complex_numIdEiS3_PS3_S4_S4_EEvT0_S5_S5_T1_bT2_lS5_S5_lbT3_lS5_S5_lS6_T4_lS5_S5_l
	.p2align	8
	.type	_ZN9rocsolver6v33100L11gemm_kernelI19rocblas_complex_numIdEiS3_PS3_S4_S4_EEvT0_S5_S5_T1_bT2_lS5_S5_lbT3_lS5_S5_lS6_T4_lS5_S5_l,@function
_ZN9rocsolver6v33100L11gemm_kernelI19rocblas_complex_numIdEiS3_PS3_S4_S4_EEvT0_S5_S5_T1_bT2_lS5_S5_lbT3_lS5_S5_lS6_T4_lS5_S5_l: ; @_ZN9rocsolver6v33100L11gemm_kernelI19rocblas_complex_numIdEiS3_PS3_S4_S4_EEvT0_S5_S5_T1_bT2_lS5_S5_lbT3_lS5_S5_lS6_T4_lS5_S5_l
; %bb.0:
	s_clause 0x1
	s_load_b32 s2, s[0:1], 0xac
	s_load_b96 s[20:22], s[0:1], 0x0
	s_bfe_u32 s5, ttmp6, 0x40010
	s_bfe_u32 s8, ttmp6, 0x4000c
	s_and_b32 s4, ttmp7, 0xffff
	s_add_co_i32 s5, s5, 1
	s_add_co_i32 s8, s8, 1
	s_bfe_u32 s6, ttmp6, 0x40004
	s_and_b32 s7, ttmp6, 15
	s_mul_i32 s5, s4, s5
	s_mul_i32 s8, ttmp9, s8
	s_getreg_b32 s3, hwreg(HW_REG_IB_STS2, 6, 4)
	v_and_b32_e32 v1, 0x3ff, v0
	v_bfe_u32 v0, v0, 10, 10
	s_add_co_i32 s6, s6, s5
	s_add_co_i32 s7, s7, s8
	s_wait_kmcnt 0x0
	s_lshr_b32 s5, s2, 16
	s_and_b32 s2, s2, 0xffff
	s_cmp_eq_u32 s3, 0
	s_cselect_b32 s7, ttmp9, s7
	s_cselect_b32 s4, s4, s6
	v_mad_u32 v8, s7, s2, v1
	v_mad_u32 v9, s4, s5, v0
	s_delay_alu instid0(VALU_DEP_2) | instskip(NEXT) | instid1(VALU_DEP_2)
	v_cmp_gt_i32_e32 vcc_lo, s20, v8
	v_cmp_gt_i32_e64 s2, s21, v9
	s_mov_b32 s21, 0
	s_and_b32 s2, vcc_lo, s2
	s_delay_alu instid0(SALU_CYCLE_1)
	s_and_saveexec_b32 s4, s2
	s_cbranch_execz .LBB3_6
; %bb.1:
	s_clause 0x1
	s_load_b64 s[24:25], s[0:1], 0x88
	s_load_b256 s[4:11], s[0:1], 0x68
	s_bfe_u32 s2, ttmp6, 0x40014
	s_lshr_b32 s12, ttmp7, 16
	s_add_co_i32 s2, s2, 1
	s_bfe_u32 s13, ttmp6, 0x40008
	s_mul_i32 s2, s12, s2
	s_delay_alu instid0(SALU_CYCLE_1)
	s_add_co_i32 s13, s13, s2
	s_cmp_eq_u32 s3, 0
	s_cselect_b32 s20, s12, s13
	s_cmp_lt_i32 s22, 1
	s_cbranch_scc1 .LBB3_4
; %bb.2:
	s_clause 0x4
	s_load_b32 s2, s[0:1], 0x20
	s_load_b256 s[12:19], s[0:1], 0x28
	s_load_b64 s[26:27], s[0:1], 0x60
	s_load_b32 s3, s[0:1], 0x48
	s_load_b128 s[28:31], s[0:1], 0x50
	s_wait_kmcnt 0x0
	s_mul_u64 s[4:5], s[4:5], s[20:21]
	s_bitcmp1_b32 s2, 0
	v_mul_lo_u32 v0, v8, s16
	v_mul_lo_u32 v2, v9, s27
	s_cselect_b32 vcc_lo, -1, 0
	s_bitcmp1_b32 s3, 0
	s_mul_u64 s[18:19], s[18:19], s[20:21]
	s_cselect_b32 s2, -1, 0
	s_lshl_b64 s[18:19], s[18:19], 4
	s_lshl_b64 s[14:15], s[14:15], 4
	;; [unrolled: 1-line block ×4, first 2 shown]
	s_add_nc_u64 s[14:15], s[18:19], s[14:15]
	s_delay_alu instid0(VALU_DEP_1) | instskip(SKIP_3) | instid1(VALU_DEP_1)
	v_dual_ashrrev_i32 v1, 31, v0 :: v_dual_ashrrev_i32 v3, 31, v2
	s_add_nc_u64 s[4:5], s[4:5], s[30:31]
	s_add_nc_u64 s[12:13], s[12:13], s[14:15]
	;; [unrolled: 1-line block ×3, first 2 shown]
	v_lshl_add_u64 v[4:5], v[0:1], 4, s[12:13]
	v_lshl_add_u64 v[2:3], v[2:3], 4, s[4:5]
	v_mov_b64_e32 v[0:1], 0
	s_ashr_i32 s5, s17, 31
	s_mov_b32 s4, s17
	v_add_nc_u64_e32 v[4:5], 8, v[4:5]
	v_add_nc_u64_e32 v[6:7], 8, v[2:3]
	v_mov_b64_e32 v[2:3], 0
	s_ashr_i32 s27, s26, 31
	s_lshl_b64 s[4:5], s[4:5], 4
	s_lshl_b64 s[12:13], s[26:27], 4
.LBB3_3:                                ; =>This Inner Loop Header: Depth=1
	global_load_b128 v[10:13], v[4:5], off offset:-8
	global_load_b128 v[14:17], v[6:7], off offset:-8
	s_wait_xcnt 0x1
	v_add_nc_u64_e32 v[4:5], s[4:5], v[4:5]
	s_wait_xcnt 0x0
	v_add_nc_u64_e32 v[6:7], s[12:13], v[6:7]
	s_add_co_i32 s22, s22, -1
	s_delay_alu instid0(SALU_CYCLE_1) | instskip(SKIP_4) | instid1(VALU_DEP_2)
	s_cmp_eq_u32 s22, 0
	s_wait_loadcnt 0x1
	v_xor_b32_e32 v18, 0x80000000, v13
	s_wait_loadcnt 0x0
	v_xor_b32_e32 v19, 0x80000000, v17
	v_cndmask_b32_e32 v13, v13, v18, vcc_lo
	s_delay_alu instid0(VALU_DEP_2) | instskip(NEXT) | instid1(VALU_DEP_1)
	v_cndmask_b32_e64 v17, v17, v19, s2
	v_mul_f64_e32 v[18:19], v[12:13], v[16:17]
	v_mul_f64_e32 v[12:13], v[12:13], v[14:15]
	s_delay_alu instid0(VALU_DEP_2) | instskip(NEXT) | instid1(VALU_DEP_2)
	v_fma_f64 v[14:15], v[10:11], v[14:15], -v[18:19]
	v_fmac_f64_e32 v[12:13], v[10:11], v[16:17]
	s_delay_alu instid0(VALU_DEP_2) | instskip(NEXT) | instid1(VALU_DEP_2)
	v_add_f64_e32 v[2:3], v[2:3], v[14:15]
	v_add_f64_e32 v[0:1], v[0:1], v[12:13]
	s_cbranch_scc0 .LBB3_3
	s_branch .LBB3_5
.LBB3_4:
	v_mov_b64_e32 v[0:1], 0
	v_mov_b64_e32 v[2:3], 0
.LBB3_5:
	s_load_b128 s[12:15], s[0:1], 0x10
	s_wait_xcnt 0x0
	s_load_b128 s[0:3], s[0:1], 0x90
	s_wait_kmcnt 0x0
	s_delay_alu instid0(VALU_DEP_1) | instskip(SKIP_1) | instid1(VALU_DEP_1)
	v_mul_f64_e32 v[10:11], s[12:13], v[0:1]
	v_mul_lo_u32 v4, v8, s0
	v_mad_u32 v12, v9, s1, v4
	s_mul_u64 s[0:1], s[2:3], s[20:21]
	s_lshl_b64 s[2:3], s[24:25], 4
	s_lshl_b64 s[0:1], s[0:1], 4
	v_mul_f64_e32 v[8:9], s[14:15], v[0:1]
	s_add_nc_u64 s[0:1], s[10:11], s[0:1]
	s_delay_alu instid0(SALU_CYCLE_1)
	s_add_nc_u64 s[0:1], s[0:1], s[2:3]
	global_load_b128 v[4:7], v12, s[0:1] scale_offset
	v_fmac_f64_e32 v[10:11], s[14:15], v[2:3]
	v_fma_f64 v[8:9], s[12:13], v[2:3], -v[8:9]
	s_wait_loadcnt 0x0
	v_mul_f64_e32 v[0:1], s[8:9], v[6:7]
	v_mul_f64_e32 v[6:7], s[6:7], v[6:7]
	s_delay_alu instid0(VALU_DEP_2) | instskip(NEXT) | instid1(VALU_DEP_2)
	v_fma_f64 v[0:1], s[6:7], v[4:5], -v[0:1]
	v_fmac_f64_e32 v[6:7], s[8:9], v[4:5]
	s_delay_alu instid0(VALU_DEP_2) | instskip(NEXT) | instid1(VALU_DEP_2)
	v_add_f64_e32 v[0:1], v[8:9], v[0:1]
	v_add_f64_e32 v[2:3], v[10:11], v[6:7]
	global_store_b128 v12, v[0:3], s[0:1] scale_offset
.LBB3_6:
	s_endpgm
	.section	.rodata,"a",@progbits
	.p2align	6, 0x0
	.amdhsa_kernel _ZN9rocsolver6v33100L11gemm_kernelI19rocblas_complex_numIdEiS3_PS3_S4_S4_EEvT0_S5_S5_T1_bT2_lS5_S5_lbT3_lS5_S5_lS6_T4_lS5_S5_l
		.amdhsa_group_segment_fixed_size 0
		.amdhsa_private_segment_fixed_size 0
		.amdhsa_kernarg_size 416
		.amdhsa_user_sgpr_count 2
		.amdhsa_user_sgpr_dispatch_ptr 0
		.amdhsa_user_sgpr_queue_ptr 0
		.amdhsa_user_sgpr_kernarg_segment_ptr 1
		.amdhsa_user_sgpr_dispatch_id 0
		.amdhsa_user_sgpr_kernarg_preload_length 0
		.amdhsa_user_sgpr_kernarg_preload_offset 0
		.amdhsa_user_sgpr_private_segment_size 0
		.amdhsa_wavefront_size32 1
		.amdhsa_uses_dynamic_stack 0
		.amdhsa_enable_private_segment 0
		.amdhsa_system_sgpr_workgroup_id_x 1
		.amdhsa_system_sgpr_workgroup_id_y 1
		.amdhsa_system_sgpr_workgroup_id_z 1
		.amdhsa_system_sgpr_workgroup_info 0
		.amdhsa_system_vgpr_workitem_id 1
		.amdhsa_next_free_vgpr 20
		.amdhsa_next_free_sgpr 32
		.amdhsa_named_barrier_count 0
		.amdhsa_reserve_vcc 1
		.amdhsa_float_round_mode_32 0
		.amdhsa_float_round_mode_16_64 0
		.amdhsa_float_denorm_mode_32 3
		.amdhsa_float_denorm_mode_16_64 3
		.amdhsa_fp16_overflow 0
		.amdhsa_memory_ordered 1
		.amdhsa_forward_progress 1
		.amdhsa_inst_pref_size 6
		.amdhsa_round_robin_scheduling 0
		.amdhsa_exception_fp_ieee_invalid_op 0
		.amdhsa_exception_fp_denorm_src 0
		.amdhsa_exception_fp_ieee_div_zero 0
		.amdhsa_exception_fp_ieee_overflow 0
		.amdhsa_exception_fp_ieee_underflow 0
		.amdhsa_exception_fp_ieee_inexact 0
		.amdhsa_exception_int_div_zero 0
	.end_amdhsa_kernel
	.section	.text._ZN9rocsolver6v33100L11gemm_kernelI19rocblas_complex_numIdEiS3_PS3_S4_S4_EEvT0_S5_S5_T1_bT2_lS5_S5_lbT3_lS5_S5_lS6_T4_lS5_S5_l,"axG",@progbits,_ZN9rocsolver6v33100L11gemm_kernelI19rocblas_complex_numIdEiS3_PS3_S4_S4_EEvT0_S5_S5_T1_bT2_lS5_S5_lbT3_lS5_S5_lS6_T4_lS5_S5_l,comdat
.Lfunc_end3:
	.size	_ZN9rocsolver6v33100L11gemm_kernelI19rocblas_complex_numIdEiS3_PS3_S4_S4_EEvT0_S5_S5_T1_bT2_lS5_S5_lbT3_lS5_S5_lS6_T4_lS5_S5_l, .Lfunc_end3-_ZN9rocsolver6v33100L11gemm_kernelI19rocblas_complex_numIdEiS3_PS3_S4_S4_EEvT0_S5_S5_T1_bT2_lS5_S5_lbT3_lS5_S5_lS6_T4_lS5_S5_l
                                        ; -- End function
	.set _ZN9rocsolver6v33100L11gemm_kernelI19rocblas_complex_numIdEiS3_PS3_S4_S4_EEvT0_S5_S5_T1_bT2_lS5_S5_lbT3_lS5_S5_lS6_T4_lS5_S5_l.num_vgpr, 20
	.set _ZN9rocsolver6v33100L11gemm_kernelI19rocblas_complex_numIdEiS3_PS3_S4_S4_EEvT0_S5_S5_T1_bT2_lS5_S5_lbT3_lS5_S5_lS6_T4_lS5_S5_l.num_agpr, 0
	.set _ZN9rocsolver6v33100L11gemm_kernelI19rocblas_complex_numIdEiS3_PS3_S4_S4_EEvT0_S5_S5_T1_bT2_lS5_S5_lbT3_lS5_S5_lS6_T4_lS5_S5_l.numbered_sgpr, 32
	.set _ZN9rocsolver6v33100L11gemm_kernelI19rocblas_complex_numIdEiS3_PS3_S4_S4_EEvT0_S5_S5_T1_bT2_lS5_S5_lbT3_lS5_S5_lS6_T4_lS5_S5_l.num_named_barrier, 0
	.set _ZN9rocsolver6v33100L11gemm_kernelI19rocblas_complex_numIdEiS3_PS3_S4_S4_EEvT0_S5_S5_T1_bT2_lS5_S5_lbT3_lS5_S5_lS6_T4_lS5_S5_l.private_seg_size, 0
	.set _ZN9rocsolver6v33100L11gemm_kernelI19rocblas_complex_numIdEiS3_PS3_S4_S4_EEvT0_S5_S5_T1_bT2_lS5_S5_lbT3_lS5_S5_lS6_T4_lS5_S5_l.uses_vcc, 1
	.set _ZN9rocsolver6v33100L11gemm_kernelI19rocblas_complex_numIdEiS3_PS3_S4_S4_EEvT0_S5_S5_T1_bT2_lS5_S5_lbT3_lS5_S5_lS6_T4_lS5_S5_l.uses_flat_scratch, 0
	.set _ZN9rocsolver6v33100L11gemm_kernelI19rocblas_complex_numIdEiS3_PS3_S4_S4_EEvT0_S5_S5_T1_bT2_lS5_S5_lbT3_lS5_S5_lS6_T4_lS5_S5_l.has_dyn_sized_stack, 0
	.set _ZN9rocsolver6v33100L11gemm_kernelI19rocblas_complex_numIdEiS3_PS3_S4_S4_EEvT0_S5_S5_T1_bT2_lS5_S5_lbT3_lS5_S5_lS6_T4_lS5_S5_l.has_recursion, 0
	.set _ZN9rocsolver6v33100L11gemm_kernelI19rocblas_complex_numIdEiS3_PS3_S4_S4_EEvT0_S5_S5_T1_bT2_lS5_S5_lbT3_lS5_S5_lS6_T4_lS5_S5_l.has_indirect_call, 0
	.section	.AMDGPU.csdata,"",@progbits
; Kernel info:
; codeLenInByte = 740
; TotalNumSgprs: 34
; NumVgprs: 20
; ScratchSize: 0
; MemoryBound: 0
; FloatMode: 240
; IeeeMode: 1
; LDSByteSize: 0 bytes/workgroup (compile time only)
; SGPRBlocks: 0
; VGPRBlocks: 1
; NumSGPRsForWavesPerEU: 34
; NumVGPRsForWavesPerEU: 20
; NamedBarCnt: 0
; Occupancy: 16
; WaveLimiterHint : 1
; COMPUTE_PGM_RSRC2:SCRATCH_EN: 0
; COMPUTE_PGM_RSRC2:USER_SGPR: 2
; COMPUTE_PGM_RSRC2:TRAP_HANDLER: 0
; COMPUTE_PGM_RSRC2:TGID_X_EN: 1
; COMPUTE_PGM_RSRC2:TGID_Y_EN: 1
; COMPUTE_PGM_RSRC2:TGID_Z_EN: 1
; COMPUTE_PGM_RSRC2:TIDIG_COMP_CNT: 1
	.section	.text._ZN9rocsolver6v33100L16mfma_gemm_kernelI19rocblas_complex_numIdEiPKS3_PKPS3_S8_S8_EEv18rocblas_operation_S9_T0_SA_SA_T1_T2_lSA_SA_lT3_lSA_SA_lSB_T4_lSA_SA_l,"axG",@progbits,_ZN9rocsolver6v33100L16mfma_gemm_kernelI19rocblas_complex_numIdEiPKS3_PKPS3_S8_S8_EEv18rocblas_operation_S9_T0_SA_SA_T1_T2_lSA_SA_lT3_lSA_SA_lSB_T4_lSA_SA_l,comdat
	.globl	_ZN9rocsolver6v33100L16mfma_gemm_kernelI19rocblas_complex_numIdEiPKS3_PKPS3_S8_S8_EEv18rocblas_operation_S9_T0_SA_SA_T1_T2_lSA_SA_lT3_lSA_SA_lSB_T4_lSA_SA_l ; -- Begin function _ZN9rocsolver6v33100L16mfma_gemm_kernelI19rocblas_complex_numIdEiPKS3_PKPS3_S8_S8_EEv18rocblas_operation_S9_T0_SA_SA_T1_T2_lSA_SA_lT3_lSA_SA_lSB_T4_lSA_SA_l
	.p2align	8
	.type	_ZN9rocsolver6v33100L16mfma_gemm_kernelI19rocblas_complex_numIdEiPKS3_PKPS3_S8_S8_EEv18rocblas_operation_S9_T0_SA_SA_T1_T2_lSA_SA_lT3_lSA_SA_lSB_T4_lSA_SA_l,@function
_ZN9rocsolver6v33100L16mfma_gemm_kernelI19rocblas_complex_numIdEiPKS3_PKPS3_S8_S8_EEv18rocblas_operation_S9_T0_SA_SA_T1_T2_lSA_SA_lT3_lSA_SA_lSB_T4_lSA_SA_l: ; @_ZN9rocsolver6v33100L16mfma_gemm_kernelI19rocblas_complex_numIdEiPKS3_PKPS3_S8_S8_EEv18rocblas_operation_S9_T0_SA_SA_T1_T2_lSA_SA_lT3_lSA_SA_lSB_T4_lSA_SA_l
; %bb.0:
	s_endpgm
	.section	.rodata,"a",@progbits
	.p2align	6, 0x0
	.amdhsa_kernel _ZN9rocsolver6v33100L16mfma_gemm_kernelI19rocblas_complex_numIdEiPKS3_PKPS3_S8_S8_EEv18rocblas_operation_S9_T0_SA_SA_T1_T2_lSA_SA_lT3_lSA_SA_lSB_T4_lSA_SA_l
		.amdhsa_group_segment_fixed_size 0
		.amdhsa_private_segment_fixed_size 0
		.amdhsa_kernarg_size 136
		.amdhsa_user_sgpr_count 2
		.amdhsa_user_sgpr_dispatch_ptr 0
		.amdhsa_user_sgpr_queue_ptr 0
		.amdhsa_user_sgpr_kernarg_segment_ptr 1
		.amdhsa_user_sgpr_dispatch_id 0
		.amdhsa_user_sgpr_kernarg_preload_length 0
		.amdhsa_user_sgpr_kernarg_preload_offset 0
		.amdhsa_user_sgpr_private_segment_size 0
		.amdhsa_wavefront_size32 1
		.amdhsa_uses_dynamic_stack 0
		.amdhsa_enable_private_segment 0
		.amdhsa_system_sgpr_workgroup_id_x 1
		.amdhsa_system_sgpr_workgroup_id_y 0
		.amdhsa_system_sgpr_workgroup_id_z 0
		.amdhsa_system_sgpr_workgroup_info 0
		.amdhsa_system_vgpr_workitem_id 0
		.amdhsa_next_free_vgpr 1
		.amdhsa_next_free_sgpr 1
		.amdhsa_named_barrier_count 0
		.amdhsa_reserve_vcc 0
		.amdhsa_float_round_mode_32 0
		.amdhsa_float_round_mode_16_64 0
		.amdhsa_float_denorm_mode_32 3
		.amdhsa_float_denorm_mode_16_64 3
		.amdhsa_fp16_overflow 0
		.amdhsa_memory_ordered 1
		.amdhsa_forward_progress 1
		.amdhsa_inst_pref_size 1
		.amdhsa_round_robin_scheduling 0
		.amdhsa_exception_fp_ieee_invalid_op 0
		.amdhsa_exception_fp_denorm_src 0
		.amdhsa_exception_fp_ieee_div_zero 0
		.amdhsa_exception_fp_ieee_overflow 0
		.amdhsa_exception_fp_ieee_underflow 0
		.amdhsa_exception_fp_ieee_inexact 0
		.amdhsa_exception_int_div_zero 0
	.end_amdhsa_kernel
	.section	.text._ZN9rocsolver6v33100L16mfma_gemm_kernelI19rocblas_complex_numIdEiPKS3_PKPS3_S8_S8_EEv18rocblas_operation_S9_T0_SA_SA_T1_T2_lSA_SA_lT3_lSA_SA_lSB_T4_lSA_SA_l,"axG",@progbits,_ZN9rocsolver6v33100L16mfma_gemm_kernelI19rocblas_complex_numIdEiPKS3_PKPS3_S8_S8_EEv18rocblas_operation_S9_T0_SA_SA_T1_T2_lSA_SA_lT3_lSA_SA_lSB_T4_lSA_SA_l,comdat
.Lfunc_end4:
	.size	_ZN9rocsolver6v33100L16mfma_gemm_kernelI19rocblas_complex_numIdEiPKS3_PKPS3_S8_S8_EEv18rocblas_operation_S9_T0_SA_SA_T1_T2_lSA_SA_lT3_lSA_SA_lSB_T4_lSA_SA_l, .Lfunc_end4-_ZN9rocsolver6v33100L16mfma_gemm_kernelI19rocblas_complex_numIdEiPKS3_PKPS3_S8_S8_EEv18rocblas_operation_S9_T0_SA_SA_T1_T2_lSA_SA_lT3_lSA_SA_lSB_T4_lSA_SA_l
                                        ; -- End function
	.set _ZN9rocsolver6v33100L16mfma_gemm_kernelI19rocblas_complex_numIdEiPKS3_PKPS3_S8_S8_EEv18rocblas_operation_S9_T0_SA_SA_T1_T2_lSA_SA_lT3_lSA_SA_lSB_T4_lSA_SA_l.num_vgpr, 0
	.set _ZN9rocsolver6v33100L16mfma_gemm_kernelI19rocblas_complex_numIdEiPKS3_PKPS3_S8_S8_EEv18rocblas_operation_S9_T0_SA_SA_T1_T2_lSA_SA_lT3_lSA_SA_lSB_T4_lSA_SA_l.num_agpr, 0
	.set _ZN9rocsolver6v33100L16mfma_gemm_kernelI19rocblas_complex_numIdEiPKS3_PKPS3_S8_S8_EEv18rocblas_operation_S9_T0_SA_SA_T1_T2_lSA_SA_lT3_lSA_SA_lSB_T4_lSA_SA_l.numbered_sgpr, 0
	.set _ZN9rocsolver6v33100L16mfma_gemm_kernelI19rocblas_complex_numIdEiPKS3_PKPS3_S8_S8_EEv18rocblas_operation_S9_T0_SA_SA_T1_T2_lSA_SA_lT3_lSA_SA_lSB_T4_lSA_SA_l.num_named_barrier, 0
	.set _ZN9rocsolver6v33100L16mfma_gemm_kernelI19rocblas_complex_numIdEiPKS3_PKPS3_S8_S8_EEv18rocblas_operation_S9_T0_SA_SA_T1_T2_lSA_SA_lT3_lSA_SA_lSB_T4_lSA_SA_l.private_seg_size, 0
	.set _ZN9rocsolver6v33100L16mfma_gemm_kernelI19rocblas_complex_numIdEiPKS3_PKPS3_S8_S8_EEv18rocblas_operation_S9_T0_SA_SA_T1_T2_lSA_SA_lT3_lSA_SA_lSB_T4_lSA_SA_l.uses_vcc, 0
	.set _ZN9rocsolver6v33100L16mfma_gemm_kernelI19rocblas_complex_numIdEiPKS3_PKPS3_S8_S8_EEv18rocblas_operation_S9_T0_SA_SA_T1_T2_lSA_SA_lT3_lSA_SA_lSB_T4_lSA_SA_l.uses_flat_scratch, 0
	.set _ZN9rocsolver6v33100L16mfma_gemm_kernelI19rocblas_complex_numIdEiPKS3_PKPS3_S8_S8_EEv18rocblas_operation_S9_T0_SA_SA_T1_T2_lSA_SA_lT3_lSA_SA_lSB_T4_lSA_SA_l.has_dyn_sized_stack, 0
	.set _ZN9rocsolver6v33100L16mfma_gemm_kernelI19rocblas_complex_numIdEiPKS3_PKPS3_S8_S8_EEv18rocblas_operation_S9_T0_SA_SA_T1_T2_lSA_SA_lT3_lSA_SA_lSB_T4_lSA_SA_l.has_recursion, 0
	.set _ZN9rocsolver6v33100L16mfma_gemm_kernelI19rocblas_complex_numIdEiPKS3_PKPS3_S8_S8_EEv18rocblas_operation_S9_T0_SA_SA_T1_T2_lSA_SA_lT3_lSA_SA_lSB_T4_lSA_SA_l.has_indirect_call, 0
	.section	.AMDGPU.csdata,"",@progbits
; Kernel info:
; codeLenInByte = 4
; TotalNumSgprs: 0
; NumVgprs: 0
; ScratchSize: 0
; MemoryBound: 0
; FloatMode: 240
; IeeeMode: 1
; LDSByteSize: 0 bytes/workgroup (compile time only)
; SGPRBlocks: 0
; VGPRBlocks: 0
; NumSGPRsForWavesPerEU: 1
; NumVGPRsForWavesPerEU: 1
; NamedBarCnt: 0
; Occupancy: 16
; WaveLimiterHint : 0
; COMPUTE_PGM_RSRC2:SCRATCH_EN: 0
; COMPUTE_PGM_RSRC2:USER_SGPR: 2
; COMPUTE_PGM_RSRC2:TRAP_HANDLER: 0
; COMPUTE_PGM_RSRC2:TGID_X_EN: 1
; COMPUTE_PGM_RSRC2:TGID_Y_EN: 0
; COMPUTE_PGM_RSRC2:TGID_Z_EN: 0
; COMPUTE_PGM_RSRC2:TIDIG_COMP_CNT: 0
	.section	.text._ZN9rocsolver6v33100L16mfma_gemm_kernelI19rocblas_complex_numIdEiS3_PKPS3_S6_S6_EEv18rocblas_operation_S7_T0_S8_S8_T1_T2_lS8_S8_lT3_lS8_S8_lS9_T4_lS8_S8_l,"axG",@progbits,_ZN9rocsolver6v33100L16mfma_gemm_kernelI19rocblas_complex_numIdEiS3_PKPS3_S6_S6_EEv18rocblas_operation_S7_T0_S8_S8_T1_T2_lS8_S8_lT3_lS8_S8_lS9_T4_lS8_S8_l,comdat
	.globl	_ZN9rocsolver6v33100L16mfma_gemm_kernelI19rocblas_complex_numIdEiS3_PKPS3_S6_S6_EEv18rocblas_operation_S7_T0_S8_S8_T1_T2_lS8_S8_lT3_lS8_S8_lS9_T4_lS8_S8_l ; -- Begin function _ZN9rocsolver6v33100L16mfma_gemm_kernelI19rocblas_complex_numIdEiS3_PKPS3_S6_S6_EEv18rocblas_operation_S7_T0_S8_S8_T1_T2_lS8_S8_lT3_lS8_S8_lS9_T4_lS8_S8_l
	.p2align	8
	.type	_ZN9rocsolver6v33100L16mfma_gemm_kernelI19rocblas_complex_numIdEiS3_PKPS3_S6_S6_EEv18rocblas_operation_S7_T0_S8_S8_T1_T2_lS8_S8_lT3_lS8_S8_lS9_T4_lS8_S8_l,@function
_ZN9rocsolver6v33100L16mfma_gemm_kernelI19rocblas_complex_numIdEiS3_PKPS3_S6_S6_EEv18rocblas_operation_S7_T0_S8_S8_T1_T2_lS8_S8_lT3_lS8_S8_lS9_T4_lS8_S8_l: ; @_ZN9rocsolver6v33100L16mfma_gemm_kernelI19rocblas_complex_numIdEiS3_PKPS3_S6_S6_EEv18rocblas_operation_S7_T0_S8_S8_T1_T2_lS8_S8_lT3_lS8_S8_lS9_T4_lS8_S8_l
; %bb.0:
	s_endpgm
	.section	.rodata,"a",@progbits
	.p2align	6, 0x0
	.amdhsa_kernel _ZN9rocsolver6v33100L16mfma_gemm_kernelI19rocblas_complex_numIdEiS3_PKPS3_S6_S6_EEv18rocblas_operation_S7_T0_S8_S8_T1_T2_lS8_S8_lT3_lS8_S8_lS9_T4_lS8_S8_l
		.amdhsa_group_segment_fixed_size 0
		.amdhsa_private_segment_fixed_size 0
		.amdhsa_kernarg_size 152
		.amdhsa_user_sgpr_count 2
		.amdhsa_user_sgpr_dispatch_ptr 0
		.amdhsa_user_sgpr_queue_ptr 0
		.amdhsa_user_sgpr_kernarg_segment_ptr 1
		.amdhsa_user_sgpr_dispatch_id 0
		.amdhsa_user_sgpr_kernarg_preload_length 0
		.amdhsa_user_sgpr_kernarg_preload_offset 0
		.amdhsa_user_sgpr_private_segment_size 0
		.amdhsa_wavefront_size32 1
		.amdhsa_uses_dynamic_stack 0
		.amdhsa_enable_private_segment 0
		.amdhsa_system_sgpr_workgroup_id_x 1
		.amdhsa_system_sgpr_workgroup_id_y 0
		.amdhsa_system_sgpr_workgroup_id_z 0
		.amdhsa_system_sgpr_workgroup_info 0
		.amdhsa_system_vgpr_workitem_id 0
		.amdhsa_next_free_vgpr 1
		.amdhsa_next_free_sgpr 1
		.amdhsa_named_barrier_count 0
		.amdhsa_reserve_vcc 0
		.amdhsa_float_round_mode_32 0
		.amdhsa_float_round_mode_16_64 0
		.amdhsa_float_denorm_mode_32 3
		.amdhsa_float_denorm_mode_16_64 3
		.amdhsa_fp16_overflow 0
		.amdhsa_memory_ordered 1
		.amdhsa_forward_progress 1
		.amdhsa_inst_pref_size 1
		.amdhsa_round_robin_scheduling 0
		.amdhsa_exception_fp_ieee_invalid_op 0
		.amdhsa_exception_fp_denorm_src 0
		.amdhsa_exception_fp_ieee_div_zero 0
		.amdhsa_exception_fp_ieee_overflow 0
		.amdhsa_exception_fp_ieee_underflow 0
		.amdhsa_exception_fp_ieee_inexact 0
		.amdhsa_exception_int_div_zero 0
	.end_amdhsa_kernel
	.section	.text._ZN9rocsolver6v33100L16mfma_gemm_kernelI19rocblas_complex_numIdEiS3_PKPS3_S6_S6_EEv18rocblas_operation_S7_T0_S8_S8_T1_T2_lS8_S8_lT3_lS8_S8_lS9_T4_lS8_S8_l,"axG",@progbits,_ZN9rocsolver6v33100L16mfma_gemm_kernelI19rocblas_complex_numIdEiS3_PKPS3_S6_S6_EEv18rocblas_operation_S7_T0_S8_S8_T1_T2_lS8_S8_lT3_lS8_S8_lS9_T4_lS8_S8_l,comdat
.Lfunc_end5:
	.size	_ZN9rocsolver6v33100L16mfma_gemm_kernelI19rocblas_complex_numIdEiS3_PKPS3_S6_S6_EEv18rocblas_operation_S7_T0_S8_S8_T1_T2_lS8_S8_lT3_lS8_S8_lS9_T4_lS8_S8_l, .Lfunc_end5-_ZN9rocsolver6v33100L16mfma_gemm_kernelI19rocblas_complex_numIdEiS3_PKPS3_S6_S6_EEv18rocblas_operation_S7_T0_S8_S8_T1_T2_lS8_S8_lT3_lS8_S8_lS9_T4_lS8_S8_l
                                        ; -- End function
	.set _ZN9rocsolver6v33100L16mfma_gemm_kernelI19rocblas_complex_numIdEiS3_PKPS3_S6_S6_EEv18rocblas_operation_S7_T0_S8_S8_T1_T2_lS8_S8_lT3_lS8_S8_lS9_T4_lS8_S8_l.num_vgpr, 0
	.set _ZN9rocsolver6v33100L16mfma_gemm_kernelI19rocblas_complex_numIdEiS3_PKPS3_S6_S6_EEv18rocblas_operation_S7_T0_S8_S8_T1_T2_lS8_S8_lT3_lS8_S8_lS9_T4_lS8_S8_l.num_agpr, 0
	.set _ZN9rocsolver6v33100L16mfma_gemm_kernelI19rocblas_complex_numIdEiS3_PKPS3_S6_S6_EEv18rocblas_operation_S7_T0_S8_S8_T1_T2_lS8_S8_lT3_lS8_S8_lS9_T4_lS8_S8_l.numbered_sgpr, 0
	.set _ZN9rocsolver6v33100L16mfma_gemm_kernelI19rocblas_complex_numIdEiS3_PKPS3_S6_S6_EEv18rocblas_operation_S7_T0_S8_S8_T1_T2_lS8_S8_lT3_lS8_S8_lS9_T4_lS8_S8_l.num_named_barrier, 0
	.set _ZN9rocsolver6v33100L16mfma_gemm_kernelI19rocblas_complex_numIdEiS3_PKPS3_S6_S6_EEv18rocblas_operation_S7_T0_S8_S8_T1_T2_lS8_S8_lT3_lS8_S8_lS9_T4_lS8_S8_l.private_seg_size, 0
	.set _ZN9rocsolver6v33100L16mfma_gemm_kernelI19rocblas_complex_numIdEiS3_PKPS3_S6_S6_EEv18rocblas_operation_S7_T0_S8_S8_T1_T2_lS8_S8_lT3_lS8_S8_lS9_T4_lS8_S8_l.uses_vcc, 0
	.set _ZN9rocsolver6v33100L16mfma_gemm_kernelI19rocblas_complex_numIdEiS3_PKPS3_S6_S6_EEv18rocblas_operation_S7_T0_S8_S8_T1_T2_lS8_S8_lT3_lS8_S8_lS9_T4_lS8_S8_l.uses_flat_scratch, 0
	.set _ZN9rocsolver6v33100L16mfma_gemm_kernelI19rocblas_complex_numIdEiS3_PKPS3_S6_S6_EEv18rocblas_operation_S7_T0_S8_S8_T1_T2_lS8_S8_lT3_lS8_S8_lS9_T4_lS8_S8_l.has_dyn_sized_stack, 0
	.set _ZN9rocsolver6v33100L16mfma_gemm_kernelI19rocblas_complex_numIdEiS3_PKPS3_S6_S6_EEv18rocblas_operation_S7_T0_S8_S8_T1_T2_lS8_S8_lT3_lS8_S8_lS9_T4_lS8_S8_l.has_recursion, 0
	.set _ZN9rocsolver6v33100L16mfma_gemm_kernelI19rocblas_complex_numIdEiS3_PKPS3_S6_S6_EEv18rocblas_operation_S7_T0_S8_S8_T1_T2_lS8_S8_lT3_lS8_S8_lS9_T4_lS8_S8_l.has_indirect_call, 0
	.section	.AMDGPU.csdata,"",@progbits
; Kernel info:
; codeLenInByte = 4
; TotalNumSgprs: 0
; NumVgprs: 0
; ScratchSize: 0
; MemoryBound: 0
; FloatMode: 240
; IeeeMode: 1
; LDSByteSize: 0 bytes/workgroup (compile time only)
; SGPRBlocks: 0
; VGPRBlocks: 0
; NumSGPRsForWavesPerEU: 1
; NumVGPRsForWavesPerEU: 1
; NamedBarCnt: 0
; Occupancy: 16
; WaveLimiterHint : 0
; COMPUTE_PGM_RSRC2:SCRATCH_EN: 0
; COMPUTE_PGM_RSRC2:USER_SGPR: 2
; COMPUTE_PGM_RSRC2:TRAP_HANDLER: 0
; COMPUTE_PGM_RSRC2:TGID_X_EN: 1
; COMPUTE_PGM_RSRC2:TGID_Y_EN: 0
; COMPUTE_PGM_RSRC2:TGID_Z_EN: 0
; COMPUTE_PGM_RSRC2:TIDIG_COMP_CNT: 0
	.section	.text._ZN9rocsolver6v33100L11gemm_kernelI19rocblas_complex_numIdEiPKS3_PKPS3_S8_S8_EEvT0_S9_S9_T1_bT2_lS9_S9_lbT3_lS9_S9_lSA_T4_lS9_S9_l,"axG",@progbits,_ZN9rocsolver6v33100L11gemm_kernelI19rocblas_complex_numIdEiPKS3_PKPS3_S8_S8_EEvT0_S9_S9_T1_bT2_lS9_S9_lbT3_lS9_S9_lSA_T4_lS9_S9_l,comdat
	.globl	_ZN9rocsolver6v33100L11gemm_kernelI19rocblas_complex_numIdEiPKS3_PKPS3_S8_S8_EEvT0_S9_S9_T1_bT2_lS9_S9_lbT3_lS9_S9_lSA_T4_lS9_S9_l ; -- Begin function _ZN9rocsolver6v33100L11gemm_kernelI19rocblas_complex_numIdEiPKS3_PKPS3_S8_S8_EEvT0_S9_S9_T1_bT2_lS9_S9_lbT3_lS9_S9_lSA_T4_lS9_S9_l
	.p2align	8
	.type	_ZN9rocsolver6v33100L11gemm_kernelI19rocblas_complex_numIdEiPKS3_PKPS3_S8_S8_EEvT0_S9_S9_T1_bT2_lS9_S9_lbT3_lS9_S9_lSA_T4_lS9_S9_l,@function
_ZN9rocsolver6v33100L11gemm_kernelI19rocblas_complex_numIdEiPKS3_PKPS3_S8_S8_EEvT0_S9_S9_T1_bT2_lS9_S9_lbT3_lS9_S9_lSA_T4_lS9_S9_l: ; @_ZN9rocsolver6v33100L11gemm_kernelI19rocblas_complex_numIdEiPKS3_PKPS3_S8_S8_EEvT0_S9_S9_T1_bT2_lS9_S9_lbT3_lS9_S9_lSA_T4_lS9_S9_l
; %bb.0:
	s_clause 0x1
	s_load_b32 s2, s[0:1], 0x9c
	s_load_b96 s[8:10], s[0:1], 0x0
	s_bfe_u32 s5, ttmp6, 0x40010
	s_bfe_u32 s11, ttmp6, 0x4000c
	s_and_b32 s4, ttmp7, 0xffff
	s_add_co_i32 s5, s5, 1
	s_add_co_i32 s11, s11, 1
	s_bfe_u32 s6, ttmp6, 0x40004
	s_and_b32 s7, ttmp6, 15
	s_mul_i32 s5, s4, s5
	s_mul_i32 s11, ttmp9, s11
	s_getreg_b32 s3, hwreg(HW_REG_IB_STS2, 6, 4)
	v_and_b32_e32 v1, 0x3ff, v0
	v_bfe_u32 v0, v0, 10, 10
	s_add_co_i32 s6, s6, s5
	s_add_co_i32 s7, s7, s11
	s_wait_kmcnt 0x0
	s_lshr_b32 s5, s2, 16
	s_and_b32 s2, s2, 0xffff
	s_cmp_eq_u32 s3, 0
	s_cselect_b32 s7, ttmp9, s7
	s_cselect_b32 s4, s4, s6
	v_mad_u32 v8, s7, s2, v1
	v_mad_u32 v9, s4, s5, v0
	s_delay_alu instid0(VALU_DEP_2) | instskip(NEXT) | instid1(VALU_DEP_2)
	v_cmp_gt_i32_e32 vcc_lo, s8, v8
	v_cmp_gt_i32_e64 s2, s9, v9
	s_and_b32 s2, vcc_lo, s2
	s_delay_alu instid0(SALU_CYCLE_1)
	s_and_saveexec_b32 s4, s2
	s_cbranch_execz .LBB6_6
; %bb.1:
	s_clause 0x2
	s_load_b64 s[16:17], s[0:1], 0x78
	s_load_b64 s[18:19], s[0:1], 0x10
	s_load_b128 s[4:7], s[0:1], 0x68
	s_bfe_u32 s2, ttmp6, 0x40014
	s_lshr_b32 s8, ttmp7, 16
	s_add_co_i32 s2, s2, 1
	s_bfe_u32 s9, ttmp6, 0x40008
	s_mul_i32 s2, s8, s2
	s_delay_alu instid0(SALU_CYCLE_1)
	s_add_co_i32 s9, s9, s2
	s_cmp_eq_u32 s3, 0
	s_cselect_b32 s20, s8, s9
	s_cmp_lt_i32 s10, 1
	s_cbranch_scc1 .LBB6_4
; %bb.2:
	s_clause 0x5
	s_load_b128 s[12:15], s[0:1], 0x20
	s_load_b128 s[24:27], s[0:1], 0x48
	s_load_b64 s[2:3], s[0:1], 0x30
	s_load_b64 s[22:23], s[0:1], 0x58
	s_load_b32 s11, s[0:1], 0x18
	s_load_b32 s21, s[0:1], 0x40
	s_wait_kmcnt 0x0
	s_load_b64 s[8:9], s[12:13], s20 offset:0x0 scale_offset
	s_load_b64 s[28:29], s[24:25], s20 offset:0x0 scale_offset
	v_mul_lo_u32 v0, v8, s2
	v_mul_lo_u32 v2, v9, s23
	s_bitcmp1_b32 s11, 0
	s_cselect_b32 vcc_lo, -1, 0
	s_bitcmp1_b32 s21, 0
	s_cselect_b32 s2, -1, 0
	s_wait_xcnt 0x0
	s_lshl_b64 s[12:13], s[14:15], 4
	s_lshl_b64 s[14:15], s[26:27], 4
	s_ashr_i32 s23, s22, 31
	s_delay_alu instid0(VALU_DEP_1) | instskip(SKIP_3) | instid1(VALU_DEP_1)
	v_dual_ashrrev_i32 v1, 31, v0 :: v_dual_ashrrev_i32 v3, 31, v2
	s_wait_kmcnt 0x0
	s_add_nc_u64 s[8:9], s[8:9], s[12:13]
	s_add_nc_u64 s[12:13], s[28:29], s[14:15]
	v_lshl_add_u64 v[4:5], v[0:1], 4, s[8:9]
	v_lshl_add_u64 v[2:3], v[2:3], 4, s[12:13]
	v_mov_b64_e32 v[0:1], 0
	s_ashr_i32 s9, s3, 31
	s_mov_b32 s8, s3
	v_add_nc_u64_e32 v[4:5], 8, v[4:5]
	v_add_nc_u64_e32 v[6:7], 8, v[2:3]
	v_mov_b64_e32 v[2:3], 0
	s_lshl_b64 s[8:9], s[8:9], 4
	s_lshl_b64 s[12:13], s[22:23], 4
.LBB6_3:                                ; =>This Inner Loop Header: Depth=1
	flat_load_b128 v[10:13], v[4:5] offset:-8
	flat_load_b128 v[14:17], v[6:7] offset:-8
	s_wait_xcnt 0x1
	v_add_nc_u64_e32 v[4:5], s[8:9], v[4:5]
	s_wait_xcnt 0x0
	v_add_nc_u64_e32 v[6:7], s[12:13], v[6:7]
	s_add_co_i32 s10, s10, -1
	s_delay_alu instid0(SALU_CYCLE_1) | instskip(SKIP_4) | instid1(VALU_DEP_2)
	s_cmp_eq_u32 s10, 0
	s_wait_loadcnt_dscnt 0x101
	v_xor_b32_e32 v18, 0x80000000, v13
	s_wait_loadcnt_dscnt 0x0
	v_xor_b32_e32 v19, 0x80000000, v17
	v_cndmask_b32_e32 v13, v13, v18, vcc_lo
	s_delay_alu instid0(VALU_DEP_2) | instskip(NEXT) | instid1(VALU_DEP_1)
	v_cndmask_b32_e64 v17, v17, v19, s2
	v_mul_f64_e32 v[18:19], v[12:13], v[16:17]
	v_mul_f64_e32 v[12:13], v[12:13], v[14:15]
	s_delay_alu instid0(VALU_DEP_2) | instskip(NEXT) | instid1(VALU_DEP_2)
	v_fma_f64 v[14:15], v[10:11], v[14:15], -v[18:19]
	v_fmac_f64_e32 v[12:13], v[10:11], v[16:17]
	s_delay_alu instid0(VALU_DEP_2) | instskip(NEXT) | instid1(VALU_DEP_2)
	v_add_f64_e32 v[2:3], v[2:3], v[14:15]
	v_add_f64_e32 v[0:1], v[0:1], v[12:13]
	s_cbranch_scc0 .LBB6_3
	s_branch .LBB6_5
.LBB6_4:
	v_mov_b64_e32 v[0:1], 0
	v_mov_b64_e32 v[2:3], 0
.LBB6_5:
	s_wait_kmcnt 0x0
	s_load_b128 s[12:15], s[18:19], 0x0
	s_load_b128 s[8:11], s[4:5], 0x0
	s_load_b64 s[2:3], s[6:7], s20 offset:0x0 scale_offset
                                        ; kill: killed $sgpr18_sgpr19
                                        ; kill: killed $sgpr4_sgpr5_sgpr6 killed $sgpr7
                                        ; kill: killed $sgpr20
	s_nop 0
	s_load_b64 s[0:1], s[0:1], 0x80
	s_wait_kmcnt 0x0
	s_delay_alu instid0(VALU_DEP_1) | instskip(SKIP_1) | instid1(VALU_DEP_1)
	v_mul_f64_e32 v[10:11], s[12:13], v[0:1]
	v_mul_lo_u32 v4, v8, s0
	v_mad_u32 v12, v9, s1, v4
	s_lshl_b64 s[0:1], s[16:17], 4
	v_mul_f64_e32 v[8:9], s[14:15], v[0:1]
	s_add_nc_u64 s[0:1], s[2:3], s[0:1]
	flat_load_b128 v[4:7], v12, s[0:1] scale_offset
	v_fmac_f64_e32 v[10:11], s[14:15], v[2:3]
	v_fma_f64 v[8:9], s[12:13], v[2:3], -v[8:9]
	s_wait_loadcnt_dscnt 0x0
	v_mul_f64_e32 v[0:1], s[10:11], v[6:7]
	v_mul_f64_e32 v[6:7], s[8:9], v[6:7]
	s_delay_alu instid0(VALU_DEP_2) | instskip(NEXT) | instid1(VALU_DEP_2)
	v_fma_f64 v[0:1], s[8:9], v[4:5], -v[0:1]
	v_fmac_f64_e32 v[6:7], s[10:11], v[4:5]
	s_delay_alu instid0(VALU_DEP_2) | instskip(NEXT) | instid1(VALU_DEP_2)
	v_add_f64_e32 v[0:1], v[8:9], v[0:1]
	v_add_f64_e32 v[2:3], v[10:11], v[6:7]
	flat_store_b128 v12, v[0:3], s[0:1] scale_offset
.LBB6_6:
	s_endpgm
	.section	.rodata,"a",@progbits
	.p2align	6, 0x0
	.amdhsa_kernel _ZN9rocsolver6v33100L11gemm_kernelI19rocblas_complex_numIdEiPKS3_PKPS3_S8_S8_EEvT0_S9_S9_T1_bT2_lS9_S9_lbT3_lS9_S9_lSA_T4_lS9_S9_l
		.amdhsa_group_segment_fixed_size 0
		.amdhsa_private_segment_fixed_size 0
		.amdhsa_kernarg_size 400
		.amdhsa_user_sgpr_count 2
		.amdhsa_user_sgpr_dispatch_ptr 0
		.amdhsa_user_sgpr_queue_ptr 0
		.amdhsa_user_sgpr_kernarg_segment_ptr 1
		.amdhsa_user_sgpr_dispatch_id 0
		.amdhsa_user_sgpr_kernarg_preload_length 0
		.amdhsa_user_sgpr_kernarg_preload_offset 0
		.amdhsa_user_sgpr_private_segment_size 0
		.amdhsa_wavefront_size32 1
		.amdhsa_uses_dynamic_stack 0
		.amdhsa_enable_private_segment 0
		.amdhsa_system_sgpr_workgroup_id_x 1
		.amdhsa_system_sgpr_workgroup_id_y 1
		.amdhsa_system_sgpr_workgroup_id_z 1
		.amdhsa_system_sgpr_workgroup_info 0
		.amdhsa_system_vgpr_workitem_id 1
		.amdhsa_next_free_vgpr 20
		.amdhsa_next_free_sgpr 30
		.amdhsa_named_barrier_count 0
		.amdhsa_reserve_vcc 1
		.amdhsa_float_round_mode_32 0
		.amdhsa_float_round_mode_16_64 0
		.amdhsa_float_denorm_mode_32 3
		.amdhsa_float_denorm_mode_16_64 3
		.amdhsa_fp16_overflow 0
		.amdhsa_memory_ordered 1
		.amdhsa_forward_progress 1
		.amdhsa_inst_pref_size 6
		.amdhsa_round_robin_scheduling 0
		.amdhsa_exception_fp_ieee_invalid_op 0
		.amdhsa_exception_fp_denorm_src 0
		.amdhsa_exception_fp_ieee_div_zero 0
		.amdhsa_exception_fp_ieee_overflow 0
		.amdhsa_exception_fp_ieee_underflow 0
		.amdhsa_exception_fp_ieee_inexact 0
		.amdhsa_exception_int_div_zero 0
	.end_amdhsa_kernel
	.section	.text._ZN9rocsolver6v33100L11gemm_kernelI19rocblas_complex_numIdEiPKS3_PKPS3_S8_S8_EEvT0_S9_S9_T1_bT2_lS9_S9_lbT3_lS9_S9_lSA_T4_lS9_S9_l,"axG",@progbits,_ZN9rocsolver6v33100L11gemm_kernelI19rocblas_complex_numIdEiPKS3_PKPS3_S8_S8_EEvT0_S9_S9_T1_bT2_lS9_S9_lbT3_lS9_S9_lSA_T4_lS9_S9_l,comdat
.Lfunc_end6:
	.size	_ZN9rocsolver6v33100L11gemm_kernelI19rocblas_complex_numIdEiPKS3_PKPS3_S8_S8_EEvT0_S9_S9_T1_bT2_lS9_S9_lbT3_lS9_S9_lSA_T4_lS9_S9_l, .Lfunc_end6-_ZN9rocsolver6v33100L11gemm_kernelI19rocblas_complex_numIdEiPKS3_PKPS3_S8_S8_EEvT0_S9_S9_T1_bT2_lS9_S9_lbT3_lS9_S9_lSA_T4_lS9_S9_l
                                        ; -- End function
	.set _ZN9rocsolver6v33100L11gemm_kernelI19rocblas_complex_numIdEiPKS3_PKPS3_S8_S8_EEvT0_S9_S9_T1_bT2_lS9_S9_lbT3_lS9_S9_lSA_T4_lS9_S9_l.num_vgpr, 20
	.set _ZN9rocsolver6v33100L11gemm_kernelI19rocblas_complex_numIdEiPKS3_PKPS3_S8_S8_EEvT0_S9_S9_T1_bT2_lS9_S9_lbT3_lS9_S9_lSA_T4_lS9_S9_l.num_agpr, 0
	.set _ZN9rocsolver6v33100L11gemm_kernelI19rocblas_complex_numIdEiPKS3_PKPS3_S8_S8_EEvT0_S9_S9_T1_bT2_lS9_S9_lbT3_lS9_S9_lSA_T4_lS9_S9_l.numbered_sgpr, 30
	.set _ZN9rocsolver6v33100L11gemm_kernelI19rocblas_complex_numIdEiPKS3_PKPS3_S8_S8_EEvT0_S9_S9_T1_bT2_lS9_S9_lbT3_lS9_S9_lSA_T4_lS9_S9_l.num_named_barrier, 0
	.set _ZN9rocsolver6v33100L11gemm_kernelI19rocblas_complex_numIdEiPKS3_PKPS3_S8_S8_EEvT0_S9_S9_T1_bT2_lS9_S9_lbT3_lS9_S9_lSA_T4_lS9_S9_l.private_seg_size, 0
	.set _ZN9rocsolver6v33100L11gemm_kernelI19rocblas_complex_numIdEiPKS3_PKPS3_S8_S8_EEvT0_S9_S9_T1_bT2_lS9_S9_lbT3_lS9_S9_lSA_T4_lS9_S9_l.uses_vcc, 1
	.set _ZN9rocsolver6v33100L11gemm_kernelI19rocblas_complex_numIdEiPKS3_PKPS3_S8_S8_EEvT0_S9_S9_T1_bT2_lS9_S9_lbT3_lS9_S9_lSA_T4_lS9_S9_l.uses_flat_scratch, 0
	.set _ZN9rocsolver6v33100L11gemm_kernelI19rocblas_complex_numIdEiPKS3_PKPS3_S8_S8_EEvT0_S9_S9_T1_bT2_lS9_S9_lbT3_lS9_S9_lSA_T4_lS9_S9_l.has_dyn_sized_stack, 0
	.set _ZN9rocsolver6v33100L11gemm_kernelI19rocblas_complex_numIdEiPKS3_PKPS3_S8_S8_EEvT0_S9_S9_T1_bT2_lS9_S9_lbT3_lS9_S9_lSA_T4_lS9_S9_l.has_recursion, 0
	.set _ZN9rocsolver6v33100L11gemm_kernelI19rocblas_complex_numIdEiPKS3_PKPS3_S8_S8_EEvT0_S9_S9_T1_bT2_lS9_S9_lbT3_lS9_S9_lSA_T4_lS9_S9_l.has_indirect_call, 0
	.section	.AMDGPU.csdata,"",@progbits
; Kernel info:
; codeLenInByte = 756
; TotalNumSgprs: 32
; NumVgprs: 20
; ScratchSize: 0
; MemoryBound: 0
; FloatMode: 240
; IeeeMode: 1
; LDSByteSize: 0 bytes/workgroup (compile time only)
; SGPRBlocks: 0
; VGPRBlocks: 1
; NumSGPRsForWavesPerEU: 32
; NumVGPRsForWavesPerEU: 20
; NamedBarCnt: 0
; Occupancy: 16
; WaveLimiterHint : 1
; COMPUTE_PGM_RSRC2:SCRATCH_EN: 0
; COMPUTE_PGM_RSRC2:USER_SGPR: 2
; COMPUTE_PGM_RSRC2:TRAP_HANDLER: 0
; COMPUTE_PGM_RSRC2:TGID_X_EN: 1
; COMPUTE_PGM_RSRC2:TGID_Y_EN: 1
; COMPUTE_PGM_RSRC2:TGID_Z_EN: 1
; COMPUTE_PGM_RSRC2:TIDIG_COMP_CNT: 1
	.section	.text._ZN9rocsolver6v33100L11gemm_kernelI19rocblas_complex_numIdEiS3_PKPS3_S6_S6_EEvT0_S7_S7_T1_bT2_lS7_S7_lbT3_lS7_S7_lS8_T4_lS7_S7_l,"axG",@progbits,_ZN9rocsolver6v33100L11gemm_kernelI19rocblas_complex_numIdEiS3_PKPS3_S6_S6_EEvT0_S7_S7_T1_bT2_lS7_S7_lbT3_lS7_S7_lS8_T4_lS7_S7_l,comdat
	.globl	_ZN9rocsolver6v33100L11gemm_kernelI19rocblas_complex_numIdEiS3_PKPS3_S6_S6_EEvT0_S7_S7_T1_bT2_lS7_S7_lbT3_lS7_S7_lS8_T4_lS7_S7_l ; -- Begin function _ZN9rocsolver6v33100L11gemm_kernelI19rocblas_complex_numIdEiS3_PKPS3_S6_S6_EEvT0_S7_S7_T1_bT2_lS7_S7_lbT3_lS7_S7_lS8_T4_lS7_S7_l
	.p2align	8
	.type	_ZN9rocsolver6v33100L11gemm_kernelI19rocblas_complex_numIdEiS3_PKPS3_S6_S6_EEvT0_S7_S7_T1_bT2_lS7_S7_lbT3_lS7_S7_lS8_T4_lS7_S7_l,@function
_ZN9rocsolver6v33100L11gemm_kernelI19rocblas_complex_numIdEiS3_PKPS3_S6_S6_EEvT0_S7_S7_T1_bT2_lS7_S7_lbT3_lS7_S7_lS8_T4_lS7_S7_l: ; @_ZN9rocsolver6v33100L11gemm_kernelI19rocblas_complex_numIdEiS3_PKPS3_S6_S6_EEvT0_S7_S7_T1_bT2_lS7_S7_lbT3_lS7_S7_lS8_T4_lS7_S7_l
; %bb.0:
	s_clause 0x1
	s_load_b32 s2, s[0:1], 0xac
	s_load_b96 s[12:14], s[0:1], 0x0
	s_bfe_u32 s5, ttmp6, 0x40010
	s_bfe_u32 s8, ttmp6, 0x4000c
	s_and_b32 s4, ttmp7, 0xffff
	s_add_co_i32 s5, s5, 1
	s_add_co_i32 s8, s8, 1
	s_bfe_u32 s6, ttmp6, 0x40004
	s_and_b32 s7, ttmp6, 15
	s_mul_i32 s5, s4, s5
	s_mul_i32 s8, ttmp9, s8
	s_getreg_b32 s3, hwreg(HW_REG_IB_STS2, 6, 4)
	v_and_b32_e32 v1, 0x3ff, v0
	v_bfe_u32 v0, v0, 10, 10
	s_add_co_i32 s6, s6, s5
	s_add_co_i32 s7, s7, s8
	s_wait_kmcnt 0x0
	s_lshr_b32 s5, s2, 16
	s_and_b32 s2, s2, 0xffff
	s_cmp_eq_u32 s3, 0
	s_cselect_b32 s7, ttmp9, s7
	s_cselect_b32 s4, s4, s6
	v_mad_u32 v8, s7, s2, v1
	v_mad_u32 v9, s4, s5, v0
	s_delay_alu instid0(VALU_DEP_2) | instskip(NEXT) | instid1(VALU_DEP_2)
	v_cmp_gt_i32_e32 vcc_lo, s12, v8
	v_cmp_gt_i32_e64 s2, s13, v9
	s_and_b32 s2, vcc_lo, s2
	s_delay_alu instid0(SALU_CYCLE_1)
	s_and_saveexec_b32 s4, s2
	s_cbranch_execz .LBB7_6
; %bb.1:
	s_load_b256 s[4:11], s[0:1], 0x70
	s_bfe_u32 s2, ttmp6, 0x40014
	s_lshr_b32 s12, ttmp7, 16
	s_add_co_i32 s2, s2, 1
	s_bfe_u32 s13, ttmp6, 0x40008
	s_mul_i32 s2, s12, s2
	s_delay_alu instid0(SALU_CYCLE_1)
	s_add_co_i32 s13, s13, s2
	s_cmp_eq_u32 s3, 0
	s_cselect_b32 s18, s12, s13
	s_cmp_lt_i32 s14, 1
	s_cbranch_scc1 .LBB7_4
; %bb.2:
	s_clause 0x5
	s_load_b128 s[20:23], s[0:1], 0x28
	s_load_b128 s[24:27], s[0:1], 0x50
	s_load_b64 s[2:3], s[0:1], 0x38
	s_load_b64 s[16:17], s[0:1], 0x60
	s_load_b32 s15, s[0:1], 0x20
	s_load_b32 s19, s[0:1], 0x48
	s_wait_kmcnt 0x0
	s_load_b64 s[12:13], s[20:21], s18 offset:0x0 scale_offset
	s_load_b64 s[28:29], s[24:25], s18 offset:0x0 scale_offset
	v_mul_lo_u32 v0, v8, s2
	v_mul_lo_u32 v2, v9, s17
	s_bitcmp1_b32 s15, 0
	s_cselect_b32 vcc_lo, -1, 0
	s_bitcmp1_b32 s19, 0
	s_cselect_b32 s2, -1, 0
	s_wait_xcnt 0x0
	s_lshl_b64 s[20:21], s[22:23], 4
	s_lshl_b64 s[22:23], s[26:27], 4
	s_ashr_i32 s17, s16, 31
	s_delay_alu instid0(VALU_DEP_1)
	v_dual_ashrrev_i32 v1, 31, v0 :: v_dual_ashrrev_i32 v3, 31, v2
	s_lshl_b64 s[16:17], s[16:17], 4
	s_wait_kmcnt 0x0
	s_add_nc_u64 s[12:13], s[12:13], s[20:21]
	s_add_nc_u64 s[20:21], s[28:29], s[22:23]
	v_lshl_add_u64 v[4:5], v[0:1], 4, s[12:13]
	v_lshl_add_u64 v[2:3], v[2:3], 4, s[20:21]
	v_mov_b64_e32 v[0:1], 0
	s_ashr_i32 s13, s3, 31
	s_mov_b32 s12, s3
	v_add_nc_u64_e32 v[4:5], 8, v[4:5]
	v_add_nc_u64_e32 v[6:7], 8, v[2:3]
	v_mov_b64_e32 v[2:3], 0
	s_lshl_b64 s[12:13], s[12:13], 4
.LBB7_3:                                ; =>This Inner Loop Header: Depth=1
	flat_load_b128 v[10:13], v[4:5] offset:-8
	flat_load_b128 v[14:17], v[6:7] offset:-8
	s_wait_xcnt 0x1
	v_add_nc_u64_e32 v[4:5], s[12:13], v[4:5]
	s_wait_xcnt 0x0
	v_add_nc_u64_e32 v[6:7], s[16:17], v[6:7]
	s_add_co_i32 s14, s14, -1
	s_delay_alu instid0(SALU_CYCLE_1) | instskip(SKIP_4) | instid1(VALU_DEP_2)
	s_cmp_eq_u32 s14, 0
	s_wait_loadcnt_dscnt 0x101
	v_xor_b32_e32 v18, 0x80000000, v13
	s_wait_loadcnt_dscnt 0x0
	v_xor_b32_e32 v19, 0x80000000, v17
	v_cndmask_b32_e32 v13, v13, v18, vcc_lo
	s_delay_alu instid0(VALU_DEP_2) | instskip(NEXT) | instid1(VALU_DEP_1)
	v_cndmask_b32_e64 v17, v17, v19, s2
	v_mul_f64_e32 v[18:19], v[12:13], v[16:17]
	v_mul_f64_e32 v[12:13], v[12:13], v[14:15]
	s_delay_alu instid0(VALU_DEP_2) | instskip(NEXT) | instid1(VALU_DEP_2)
	v_fma_f64 v[14:15], v[10:11], v[14:15], -v[18:19]
	v_fmac_f64_e32 v[12:13], v[10:11], v[16:17]
	s_delay_alu instid0(VALU_DEP_2) | instskip(NEXT) | instid1(VALU_DEP_2)
	v_add_f64_e32 v[2:3], v[2:3], v[14:15]
	v_add_f64_e32 v[0:1], v[0:1], v[12:13]
	s_cbranch_scc0 .LBB7_3
	s_branch .LBB7_5
.LBB7_4:
	v_mov_b64_e32 v[0:1], 0
	v_mov_b64_e32 v[2:3], 0
.LBB7_5:
	s_load_b128 s[12:15], s[0:1], 0x10
	s_wait_kmcnt 0x0
	s_load_b64 s[2:3], s[8:9], s18 offset:0x0 scale_offset
                                        ; kill: killed $sgpr8_sgpr9
                                        ; kill: killed $sgpr18
	s_nop 0
	s_load_b64 s[0:1], s[0:1], 0x90
	s_delay_alu instid0(VALU_DEP_1) | instskip(SKIP_2) | instid1(VALU_DEP_1)
	v_mul_f64_e32 v[10:11], s[12:13], v[0:1]
	s_wait_kmcnt 0x0
	v_mul_lo_u32 v4, v8, s0
	v_mad_u32 v12, v9, s1, v4
	s_lshl_b64 s[0:1], s[10:11], 4
	v_mul_f64_e32 v[8:9], s[14:15], v[0:1]
	s_add_nc_u64 s[0:1], s[2:3], s[0:1]
	flat_load_b128 v[4:7], v12, s[0:1] scale_offset
	v_fmac_f64_e32 v[10:11], s[14:15], v[2:3]
	v_fma_f64 v[8:9], s[12:13], v[2:3], -v[8:9]
	s_wait_loadcnt_dscnt 0x0
	v_mul_f64_e32 v[0:1], s[6:7], v[6:7]
	v_mul_f64_e32 v[6:7], s[4:5], v[6:7]
	s_delay_alu instid0(VALU_DEP_2) | instskip(NEXT) | instid1(VALU_DEP_2)
	v_fma_f64 v[0:1], s[4:5], v[4:5], -v[0:1]
	v_fmac_f64_e32 v[6:7], s[6:7], v[4:5]
	s_delay_alu instid0(VALU_DEP_2) | instskip(NEXT) | instid1(VALU_DEP_2)
	v_add_f64_e32 v[0:1], v[8:9], v[0:1]
	v_add_f64_e32 v[2:3], v[10:11], v[6:7]
	flat_store_b128 v12, v[0:3], s[0:1] scale_offset
.LBB7_6:
	s_endpgm
	.section	.rodata,"a",@progbits
	.p2align	6, 0x0
	.amdhsa_kernel _ZN9rocsolver6v33100L11gemm_kernelI19rocblas_complex_numIdEiS3_PKPS3_S6_S6_EEvT0_S7_S7_T1_bT2_lS7_S7_lbT3_lS7_S7_lS8_T4_lS7_S7_l
		.amdhsa_group_segment_fixed_size 0
		.amdhsa_private_segment_fixed_size 0
		.amdhsa_kernarg_size 416
		.amdhsa_user_sgpr_count 2
		.amdhsa_user_sgpr_dispatch_ptr 0
		.amdhsa_user_sgpr_queue_ptr 0
		.amdhsa_user_sgpr_kernarg_segment_ptr 1
		.amdhsa_user_sgpr_dispatch_id 0
		.amdhsa_user_sgpr_kernarg_preload_length 0
		.amdhsa_user_sgpr_kernarg_preload_offset 0
		.amdhsa_user_sgpr_private_segment_size 0
		.amdhsa_wavefront_size32 1
		.amdhsa_uses_dynamic_stack 0
		.amdhsa_enable_private_segment 0
		.amdhsa_system_sgpr_workgroup_id_x 1
		.amdhsa_system_sgpr_workgroup_id_y 1
		.amdhsa_system_sgpr_workgroup_id_z 1
		.amdhsa_system_sgpr_workgroup_info 0
		.amdhsa_system_vgpr_workitem_id 1
		.amdhsa_next_free_vgpr 20
		.amdhsa_next_free_sgpr 30
		.amdhsa_named_barrier_count 0
		.amdhsa_reserve_vcc 1
		.amdhsa_float_round_mode_32 0
		.amdhsa_float_round_mode_16_64 0
		.amdhsa_float_denorm_mode_32 3
		.amdhsa_float_denorm_mode_16_64 3
		.amdhsa_fp16_overflow 0
		.amdhsa_memory_ordered 1
		.amdhsa_forward_progress 1
		.amdhsa_inst_pref_size 6
		.amdhsa_round_robin_scheduling 0
		.amdhsa_exception_fp_ieee_invalid_op 0
		.amdhsa_exception_fp_denorm_src 0
		.amdhsa_exception_fp_ieee_div_zero 0
		.amdhsa_exception_fp_ieee_overflow 0
		.amdhsa_exception_fp_ieee_underflow 0
		.amdhsa_exception_fp_ieee_inexact 0
		.amdhsa_exception_int_div_zero 0
	.end_amdhsa_kernel
	.section	.text._ZN9rocsolver6v33100L11gemm_kernelI19rocblas_complex_numIdEiS3_PKPS3_S6_S6_EEvT0_S7_S7_T1_bT2_lS7_S7_lbT3_lS7_S7_lS8_T4_lS7_S7_l,"axG",@progbits,_ZN9rocsolver6v33100L11gemm_kernelI19rocblas_complex_numIdEiS3_PKPS3_S6_S6_EEvT0_S7_S7_T1_bT2_lS7_S7_lbT3_lS7_S7_lS8_T4_lS7_S7_l,comdat
.Lfunc_end7:
	.size	_ZN9rocsolver6v33100L11gemm_kernelI19rocblas_complex_numIdEiS3_PKPS3_S6_S6_EEvT0_S7_S7_T1_bT2_lS7_S7_lbT3_lS7_S7_lS8_T4_lS7_S7_l, .Lfunc_end7-_ZN9rocsolver6v33100L11gemm_kernelI19rocblas_complex_numIdEiS3_PKPS3_S6_S6_EEvT0_S7_S7_T1_bT2_lS7_S7_lbT3_lS7_S7_lS8_T4_lS7_S7_l
                                        ; -- End function
	.set _ZN9rocsolver6v33100L11gemm_kernelI19rocblas_complex_numIdEiS3_PKPS3_S6_S6_EEvT0_S7_S7_T1_bT2_lS7_S7_lbT3_lS7_S7_lS8_T4_lS7_S7_l.num_vgpr, 20
	.set _ZN9rocsolver6v33100L11gemm_kernelI19rocblas_complex_numIdEiS3_PKPS3_S6_S6_EEvT0_S7_S7_T1_bT2_lS7_S7_lbT3_lS7_S7_lS8_T4_lS7_S7_l.num_agpr, 0
	.set _ZN9rocsolver6v33100L11gemm_kernelI19rocblas_complex_numIdEiS3_PKPS3_S6_S6_EEvT0_S7_S7_T1_bT2_lS7_S7_lbT3_lS7_S7_lS8_T4_lS7_S7_l.numbered_sgpr, 30
	.set _ZN9rocsolver6v33100L11gemm_kernelI19rocblas_complex_numIdEiS3_PKPS3_S6_S6_EEvT0_S7_S7_T1_bT2_lS7_S7_lbT3_lS7_S7_lS8_T4_lS7_S7_l.num_named_barrier, 0
	.set _ZN9rocsolver6v33100L11gemm_kernelI19rocblas_complex_numIdEiS3_PKPS3_S6_S6_EEvT0_S7_S7_T1_bT2_lS7_S7_lbT3_lS7_S7_lS8_T4_lS7_S7_l.private_seg_size, 0
	.set _ZN9rocsolver6v33100L11gemm_kernelI19rocblas_complex_numIdEiS3_PKPS3_S6_S6_EEvT0_S7_S7_T1_bT2_lS7_S7_lbT3_lS7_S7_lS8_T4_lS7_S7_l.uses_vcc, 1
	.set _ZN9rocsolver6v33100L11gemm_kernelI19rocblas_complex_numIdEiS3_PKPS3_S6_S6_EEvT0_S7_S7_T1_bT2_lS7_S7_lbT3_lS7_S7_lS8_T4_lS7_S7_l.uses_flat_scratch, 0
	.set _ZN9rocsolver6v33100L11gemm_kernelI19rocblas_complex_numIdEiS3_PKPS3_S6_S6_EEvT0_S7_S7_T1_bT2_lS7_S7_lbT3_lS7_S7_lS8_T4_lS7_S7_l.has_dyn_sized_stack, 0
	.set _ZN9rocsolver6v33100L11gemm_kernelI19rocblas_complex_numIdEiS3_PKPS3_S6_S6_EEvT0_S7_S7_T1_bT2_lS7_S7_lbT3_lS7_S7_lS8_T4_lS7_S7_l.has_recursion, 0
	.set _ZN9rocsolver6v33100L11gemm_kernelI19rocblas_complex_numIdEiS3_PKPS3_S6_S6_EEvT0_S7_S7_T1_bT2_lS7_S7_lbT3_lS7_S7_lS8_T4_lS7_S7_l.has_indirect_call, 0
	.section	.AMDGPU.csdata,"",@progbits
; Kernel info:
; codeLenInByte = 728
; TotalNumSgprs: 32
; NumVgprs: 20
; ScratchSize: 0
; MemoryBound: 0
; FloatMode: 240
; IeeeMode: 1
; LDSByteSize: 0 bytes/workgroup (compile time only)
; SGPRBlocks: 0
; VGPRBlocks: 1
; NumSGPRsForWavesPerEU: 32
; NumVGPRsForWavesPerEU: 20
; NamedBarCnt: 0
; Occupancy: 16
; WaveLimiterHint : 1
; COMPUTE_PGM_RSRC2:SCRATCH_EN: 0
; COMPUTE_PGM_RSRC2:USER_SGPR: 2
; COMPUTE_PGM_RSRC2:TRAP_HANDLER: 0
; COMPUTE_PGM_RSRC2:TGID_X_EN: 1
; COMPUTE_PGM_RSRC2:TGID_Y_EN: 1
; COMPUTE_PGM_RSRC2:TGID_Z_EN: 1
; COMPUTE_PGM_RSRC2:TIDIG_COMP_CNT: 1
	.section	.text._ZN9rocsolver6v33100L9get_arrayI19rocblas_complex_numIdEiEEvPPT_S5_lT0_,"axG",@progbits,_ZN9rocsolver6v33100L9get_arrayI19rocblas_complex_numIdEiEEvPPT_S5_lT0_,comdat
	.globl	_ZN9rocsolver6v33100L9get_arrayI19rocblas_complex_numIdEiEEvPPT_S5_lT0_ ; -- Begin function _ZN9rocsolver6v33100L9get_arrayI19rocblas_complex_numIdEiEEvPPT_S5_lT0_
	.p2align	8
	.type	_ZN9rocsolver6v33100L9get_arrayI19rocblas_complex_numIdEiEEvPPT_S5_lT0_,@function
_ZN9rocsolver6v33100L9get_arrayI19rocblas_complex_numIdEiEEvPPT_S5_lT0_: ; @_ZN9rocsolver6v33100L9get_arrayI19rocblas_complex_numIdEiEEvPPT_S5_lT0_
; %bb.0:
	s_clause 0x1
	s_load_b32 s2, s[0:1], 0x2c
	s_load_b32 s3, s[0:1], 0x18
	s_bfe_u32 s4, ttmp6, 0x4000c
	s_and_b32 s5, ttmp6, 15
	s_add_co_i32 s4, s4, 1
	s_getreg_b32 s6, hwreg(HW_REG_IB_STS2, 6, 4)
	s_mul_i32 s4, ttmp9, s4
	s_delay_alu instid0(SALU_CYCLE_1) | instskip(SKIP_4) | instid1(SALU_CYCLE_1)
	s_add_co_i32 s5, s5, s4
	s_wait_kmcnt 0x0
	s_and_b32 s2, s2, 0xffff
	s_cmp_eq_u32 s6, 0
	s_cselect_b32 s4, ttmp9, s5
	v_mad_u32 v0, s4, s2, v0
	s_mov_b32 s2, exec_lo
	s_delay_alu instid0(VALU_DEP_1)
	v_cmpx_gt_i32_e64 s3, v0
	s_cbranch_execz .LBB8_2
; %bb.1:
	s_load_b64 s[2:3], s[0:1], 0x10
	v_ashrrev_i32_e32 v1, 31, v0
	s_wait_kmcnt 0x0
	s_delay_alu instid0(VALU_DEP_1) | instskip(SKIP_2) | instid1(VALU_DEP_1)
	v_mul_u64_e32 v[2:3], s[2:3], v[0:1]
	s_load_b128 s[0:3], s[0:1], 0x0
	s_wait_kmcnt 0x0
	v_lshl_add_u64 v[2:3], v[2:3], 4, s[2:3]
	global_store_b64 v0, v[2:3], s[0:1] scale_offset
.LBB8_2:
	s_endpgm
	.section	.rodata,"a",@progbits
	.p2align	6, 0x0
	.amdhsa_kernel _ZN9rocsolver6v33100L9get_arrayI19rocblas_complex_numIdEiEEvPPT_S5_lT0_
		.amdhsa_group_segment_fixed_size 0
		.amdhsa_private_segment_fixed_size 0
		.amdhsa_kernarg_size 288
		.amdhsa_user_sgpr_count 2
		.amdhsa_user_sgpr_dispatch_ptr 0
		.amdhsa_user_sgpr_queue_ptr 0
		.amdhsa_user_sgpr_kernarg_segment_ptr 1
		.amdhsa_user_sgpr_dispatch_id 0
		.amdhsa_user_sgpr_kernarg_preload_length 0
		.amdhsa_user_sgpr_kernarg_preload_offset 0
		.amdhsa_user_sgpr_private_segment_size 0
		.amdhsa_wavefront_size32 1
		.amdhsa_uses_dynamic_stack 0
		.amdhsa_enable_private_segment 0
		.amdhsa_system_sgpr_workgroup_id_x 1
		.amdhsa_system_sgpr_workgroup_id_y 0
		.amdhsa_system_sgpr_workgroup_id_z 0
		.amdhsa_system_sgpr_workgroup_info 0
		.amdhsa_system_vgpr_workitem_id 0
		.amdhsa_next_free_vgpr 4
		.amdhsa_next_free_sgpr 7
		.amdhsa_named_barrier_count 0
		.amdhsa_reserve_vcc 0
		.amdhsa_float_round_mode_32 0
		.amdhsa_float_round_mode_16_64 0
		.amdhsa_float_denorm_mode_32 3
		.amdhsa_float_denorm_mode_16_64 3
		.amdhsa_fp16_overflow 0
		.amdhsa_memory_ordered 1
		.amdhsa_forward_progress 1
		.amdhsa_inst_pref_size 2
		.amdhsa_round_robin_scheduling 0
		.amdhsa_exception_fp_ieee_invalid_op 0
		.amdhsa_exception_fp_denorm_src 0
		.amdhsa_exception_fp_ieee_div_zero 0
		.amdhsa_exception_fp_ieee_overflow 0
		.amdhsa_exception_fp_ieee_underflow 0
		.amdhsa_exception_fp_ieee_inexact 0
		.amdhsa_exception_int_div_zero 0
	.end_amdhsa_kernel
	.section	.text._ZN9rocsolver6v33100L9get_arrayI19rocblas_complex_numIdEiEEvPPT_S5_lT0_,"axG",@progbits,_ZN9rocsolver6v33100L9get_arrayI19rocblas_complex_numIdEiEEvPPT_S5_lT0_,comdat
.Lfunc_end8:
	.size	_ZN9rocsolver6v33100L9get_arrayI19rocblas_complex_numIdEiEEvPPT_S5_lT0_, .Lfunc_end8-_ZN9rocsolver6v33100L9get_arrayI19rocblas_complex_numIdEiEEvPPT_S5_lT0_
                                        ; -- End function
	.set _ZN9rocsolver6v33100L9get_arrayI19rocblas_complex_numIdEiEEvPPT_S5_lT0_.num_vgpr, 4
	.set _ZN9rocsolver6v33100L9get_arrayI19rocblas_complex_numIdEiEEvPPT_S5_lT0_.num_agpr, 0
	.set _ZN9rocsolver6v33100L9get_arrayI19rocblas_complex_numIdEiEEvPPT_S5_lT0_.numbered_sgpr, 7
	.set _ZN9rocsolver6v33100L9get_arrayI19rocblas_complex_numIdEiEEvPPT_S5_lT0_.num_named_barrier, 0
	.set _ZN9rocsolver6v33100L9get_arrayI19rocblas_complex_numIdEiEEvPPT_S5_lT0_.private_seg_size, 0
	.set _ZN9rocsolver6v33100L9get_arrayI19rocblas_complex_numIdEiEEvPPT_S5_lT0_.uses_vcc, 0
	.set _ZN9rocsolver6v33100L9get_arrayI19rocblas_complex_numIdEiEEvPPT_S5_lT0_.uses_flat_scratch, 0
	.set _ZN9rocsolver6v33100L9get_arrayI19rocblas_complex_numIdEiEEvPPT_S5_lT0_.has_dyn_sized_stack, 0
	.set _ZN9rocsolver6v33100L9get_arrayI19rocblas_complex_numIdEiEEvPPT_S5_lT0_.has_recursion, 0
	.set _ZN9rocsolver6v33100L9get_arrayI19rocblas_complex_numIdEiEEvPPT_S5_lT0_.has_indirect_call, 0
	.section	.AMDGPU.csdata,"",@progbits
; Kernel info:
; codeLenInByte = 160
; TotalNumSgprs: 7
; NumVgprs: 4
; ScratchSize: 0
; MemoryBound: 0
; FloatMode: 240
; IeeeMode: 1
; LDSByteSize: 0 bytes/workgroup (compile time only)
; SGPRBlocks: 0
; VGPRBlocks: 0
; NumSGPRsForWavesPerEU: 7
; NumVGPRsForWavesPerEU: 4
; NamedBarCnt: 0
; Occupancy: 16
; WaveLimiterHint : 0
; COMPUTE_PGM_RSRC2:SCRATCH_EN: 0
; COMPUTE_PGM_RSRC2:USER_SGPR: 2
; COMPUTE_PGM_RSRC2:TRAP_HANDLER: 0
; COMPUTE_PGM_RSRC2:TGID_X_EN: 1
; COMPUTE_PGM_RSRC2:TGID_Y_EN: 0
; COMPUTE_PGM_RSRC2:TGID_Z_EN: 0
; COMPUTE_PGM_RSRC2:TIDIG_COMP_CNT: 0
	.section	.text._ZN9rocsolver6v33100L16mfma_gemm_kernelI19rocblas_complex_numIdEiPKS3_PS3_PKS6_S8_EEv18rocblas_operation_S9_T0_SA_SA_T1_T2_lSA_SA_lT3_lSA_SA_lSB_T4_lSA_SA_l,"axG",@progbits,_ZN9rocsolver6v33100L16mfma_gemm_kernelI19rocblas_complex_numIdEiPKS3_PS3_PKS6_S8_EEv18rocblas_operation_S9_T0_SA_SA_T1_T2_lSA_SA_lT3_lSA_SA_lSB_T4_lSA_SA_l,comdat
	.globl	_ZN9rocsolver6v33100L16mfma_gemm_kernelI19rocblas_complex_numIdEiPKS3_PS3_PKS6_S8_EEv18rocblas_operation_S9_T0_SA_SA_T1_T2_lSA_SA_lT3_lSA_SA_lSB_T4_lSA_SA_l ; -- Begin function _ZN9rocsolver6v33100L16mfma_gemm_kernelI19rocblas_complex_numIdEiPKS3_PS3_PKS6_S8_EEv18rocblas_operation_S9_T0_SA_SA_T1_T2_lSA_SA_lT3_lSA_SA_lSB_T4_lSA_SA_l
	.p2align	8
	.type	_ZN9rocsolver6v33100L16mfma_gemm_kernelI19rocblas_complex_numIdEiPKS3_PS3_PKS6_S8_EEv18rocblas_operation_S9_T0_SA_SA_T1_T2_lSA_SA_lT3_lSA_SA_lSB_T4_lSA_SA_l,@function
_ZN9rocsolver6v33100L16mfma_gemm_kernelI19rocblas_complex_numIdEiPKS3_PS3_PKS6_S8_EEv18rocblas_operation_S9_T0_SA_SA_T1_T2_lSA_SA_lT3_lSA_SA_lSB_T4_lSA_SA_l: ; @_ZN9rocsolver6v33100L16mfma_gemm_kernelI19rocblas_complex_numIdEiPKS3_PS3_PKS6_S8_EEv18rocblas_operation_S9_T0_SA_SA_T1_T2_lSA_SA_lT3_lSA_SA_lSB_T4_lSA_SA_l
; %bb.0:
	s_endpgm
	.section	.rodata,"a",@progbits
	.p2align	6, 0x0
	.amdhsa_kernel _ZN9rocsolver6v33100L16mfma_gemm_kernelI19rocblas_complex_numIdEiPKS3_PS3_PKS6_S8_EEv18rocblas_operation_S9_T0_SA_SA_T1_T2_lSA_SA_lT3_lSA_SA_lSB_T4_lSA_SA_l
		.amdhsa_group_segment_fixed_size 0
		.amdhsa_private_segment_fixed_size 0
		.amdhsa_kernarg_size 136
		.amdhsa_user_sgpr_count 2
		.amdhsa_user_sgpr_dispatch_ptr 0
		.amdhsa_user_sgpr_queue_ptr 0
		.amdhsa_user_sgpr_kernarg_segment_ptr 1
		.amdhsa_user_sgpr_dispatch_id 0
		.amdhsa_user_sgpr_kernarg_preload_length 0
		.amdhsa_user_sgpr_kernarg_preload_offset 0
		.amdhsa_user_sgpr_private_segment_size 0
		.amdhsa_wavefront_size32 1
		.amdhsa_uses_dynamic_stack 0
		.amdhsa_enable_private_segment 0
		.amdhsa_system_sgpr_workgroup_id_x 1
		.amdhsa_system_sgpr_workgroup_id_y 0
		.amdhsa_system_sgpr_workgroup_id_z 0
		.amdhsa_system_sgpr_workgroup_info 0
		.amdhsa_system_vgpr_workitem_id 0
		.amdhsa_next_free_vgpr 1
		.amdhsa_next_free_sgpr 1
		.amdhsa_named_barrier_count 0
		.amdhsa_reserve_vcc 0
		.amdhsa_float_round_mode_32 0
		.amdhsa_float_round_mode_16_64 0
		.amdhsa_float_denorm_mode_32 3
		.amdhsa_float_denorm_mode_16_64 3
		.amdhsa_fp16_overflow 0
		.amdhsa_memory_ordered 1
		.amdhsa_forward_progress 1
		.amdhsa_inst_pref_size 1
		.amdhsa_round_robin_scheduling 0
		.amdhsa_exception_fp_ieee_invalid_op 0
		.amdhsa_exception_fp_denorm_src 0
		.amdhsa_exception_fp_ieee_div_zero 0
		.amdhsa_exception_fp_ieee_overflow 0
		.amdhsa_exception_fp_ieee_underflow 0
		.amdhsa_exception_fp_ieee_inexact 0
		.amdhsa_exception_int_div_zero 0
	.end_amdhsa_kernel
	.section	.text._ZN9rocsolver6v33100L16mfma_gemm_kernelI19rocblas_complex_numIdEiPKS3_PS3_PKS6_S8_EEv18rocblas_operation_S9_T0_SA_SA_T1_T2_lSA_SA_lT3_lSA_SA_lSB_T4_lSA_SA_l,"axG",@progbits,_ZN9rocsolver6v33100L16mfma_gemm_kernelI19rocblas_complex_numIdEiPKS3_PS3_PKS6_S8_EEv18rocblas_operation_S9_T0_SA_SA_T1_T2_lSA_SA_lT3_lSA_SA_lSB_T4_lSA_SA_l,comdat
.Lfunc_end9:
	.size	_ZN9rocsolver6v33100L16mfma_gemm_kernelI19rocblas_complex_numIdEiPKS3_PS3_PKS6_S8_EEv18rocblas_operation_S9_T0_SA_SA_T1_T2_lSA_SA_lT3_lSA_SA_lSB_T4_lSA_SA_l, .Lfunc_end9-_ZN9rocsolver6v33100L16mfma_gemm_kernelI19rocblas_complex_numIdEiPKS3_PS3_PKS6_S8_EEv18rocblas_operation_S9_T0_SA_SA_T1_T2_lSA_SA_lT3_lSA_SA_lSB_T4_lSA_SA_l
                                        ; -- End function
	.set _ZN9rocsolver6v33100L16mfma_gemm_kernelI19rocblas_complex_numIdEiPKS3_PS3_PKS6_S8_EEv18rocblas_operation_S9_T0_SA_SA_T1_T2_lSA_SA_lT3_lSA_SA_lSB_T4_lSA_SA_l.num_vgpr, 0
	.set _ZN9rocsolver6v33100L16mfma_gemm_kernelI19rocblas_complex_numIdEiPKS3_PS3_PKS6_S8_EEv18rocblas_operation_S9_T0_SA_SA_T1_T2_lSA_SA_lT3_lSA_SA_lSB_T4_lSA_SA_l.num_agpr, 0
	.set _ZN9rocsolver6v33100L16mfma_gemm_kernelI19rocblas_complex_numIdEiPKS3_PS3_PKS6_S8_EEv18rocblas_operation_S9_T0_SA_SA_T1_T2_lSA_SA_lT3_lSA_SA_lSB_T4_lSA_SA_l.numbered_sgpr, 0
	.set _ZN9rocsolver6v33100L16mfma_gemm_kernelI19rocblas_complex_numIdEiPKS3_PS3_PKS6_S8_EEv18rocblas_operation_S9_T0_SA_SA_T1_T2_lSA_SA_lT3_lSA_SA_lSB_T4_lSA_SA_l.num_named_barrier, 0
	.set _ZN9rocsolver6v33100L16mfma_gemm_kernelI19rocblas_complex_numIdEiPKS3_PS3_PKS6_S8_EEv18rocblas_operation_S9_T0_SA_SA_T1_T2_lSA_SA_lT3_lSA_SA_lSB_T4_lSA_SA_l.private_seg_size, 0
	.set _ZN9rocsolver6v33100L16mfma_gemm_kernelI19rocblas_complex_numIdEiPKS3_PS3_PKS6_S8_EEv18rocblas_operation_S9_T0_SA_SA_T1_T2_lSA_SA_lT3_lSA_SA_lSB_T4_lSA_SA_l.uses_vcc, 0
	.set _ZN9rocsolver6v33100L16mfma_gemm_kernelI19rocblas_complex_numIdEiPKS3_PS3_PKS6_S8_EEv18rocblas_operation_S9_T0_SA_SA_T1_T2_lSA_SA_lT3_lSA_SA_lSB_T4_lSA_SA_l.uses_flat_scratch, 0
	.set _ZN9rocsolver6v33100L16mfma_gemm_kernelI19rocblas_complex_numIdEiPKS3_PS3_PKS6_S8_EEv18rocblas_operation_S9_T0_SA_SA_T1_T2_lSA_SA_lT3_lSA_SA_lSB_T4_lSA_SA_l.has_dyn_sized_stack, 0
	.set _ZN9rocsolver6v33100L16mfma_gemm_kernelI19rocblas_complex_numIdEiPKS3_PS3_PKS6_S8_EEv18rocblas_operation_S9_T0_SA_SA_T1_T2_lSA_SA_lT3_lSA_SA_lSB_T4_lSA_SA_l.has_recursion, 0
	.set _ZN9rocsolver6v33100L16mfma_gemm_kernelI19rocblas_complex_numIdEiPKS3_PS3_PKS6_S8_EEv18rocblas_operation_S9_T0_SA_SA_T1_T2_lSA_SA_lT3_lSA_SA_lSB_T4_lSA_SA_l.has_indirect_call, 0
	.section	.AMDGPU.csdata,"",@progbits
; Kernel info:
; codeLenInByte = 4
; TotalNumSgprs: 0
; NumVgprs: 0
; ScratchSize: 0
; MemoryBound: 0
; FloatMode: 240
; IeeeMode: 1
; LDSByteSize: 0 bytes/workgroup (compile time only)
; SGPRBlocks: 0
; VGPRBlocks: 0
; NumSGPRsForWavesPerEU: 1
; NumVGPRsForWavesPerEU: 1
; NamedBarCnt: 0
; Occupancy: 16
; WaveLimiterHint : 0
; COMPUTE_PGM_RSRC2:SCRATCH_EN: 0
; COMPUTE_PGM_RSRC2:USER_SGPR: 2
; COMPUTE_PGM_RSRC2:TRAP_HANDLER: 0
; COMPUTE_PGM_RSRC2:TGID_X_EN: 1
; COMPUTE_PGM_RSRC2:TGID_Y_EN: 0
; COMPUTE_PGM_RSRC2:TGID_Z_EN: 0
; COMPUTE_PGM_RSRC2:TIDIG_COMP_CNT: 0
	.section	.text._ZN9rocsolver6v33100L16mfma_gemm_kernelI19rocblas_complex_numIdEiS3_PS3_PKS4_S6_EEv18rocblas_operation_S7_T0_S8_S8_T1_T2_lS8_S8_lT3_lS8_S8_lS9_T4_lS8_S8_l,"axG",@progbits,_ZN9rocsolver6v33100L16mfma_gemm_kernelI19rocblas_complex_numIdEiS3_PS3_PKS4_S6_EEv18rocblas_operation_S7_T0_S8_S8_T1_T2_lS8_S8_lT3_lS8_S8_lS9_T4_lS8_S8_l,comdat
	.globl	_ZN9rocsolver6v33100L16mfma_gemm_kernelI19rocblas_complex_numIdEiS3_PS3_PKS4_S6_EEv18rocblas_operation_S7_T0_S8_S8_T1_T2_lS8_S8_lT3_lS8_S8_lS9_T4_lS8_S8_l ; -- Begin function _ZN9rocsolver6v33100L16mfma_gemm_kernelI19rocblas_complex_numIdEiS3_PS3_PKS4_S6_EEv18rocblas_operation_S7_T0_S8_S8_T1_T2_lS8_S8_lT3_lS8_S8_lS9_T4_lS8_S8_l
	.p2align	8
	.type	_ZN9rocsolver6v33100L16mfma_gemm_kernelI19rocblas_complex_numIdEiS3_PS3_PKS4_S6_EEv18rocblas_operation_S7_T0_S8_S8_T1_T2_lS8_S8_lT3_lS8_S8_lS9_T4_lS8_S8_l,@function
_ZN9rocsolver6v33100L16mfma_gemm_kernelI19rocblas_complex_numIdEiS3_PS3_PKS4_S6_EEv18rocblas_operation_S7_T0_S8_S8_T1_T2_lS8_S8_lT3_lS8_S8_lS9_T4_lS8_S8_l: ; @_ZN9rocsolver6v33100L16mfma_gemm_kernelI19rocblas_complex_numIdEiS3_PS3_PKS4_S6_EEv18rocblas_operation_S7_T0_S8_S8_T1_T2_lS8_S8_lT3_lS8_S8_lS9_T4_lS8_S8_l
; %bb.0:
	s_endpgm
	.section	.rodata,"a",@progbits
	.p2align	6, 0x0
	.amdhsa_kernel _ZN9rocsolver6v33100L16mfma_gemm_kernelI19rocblas_complex_numIdEiS3_PS3_PKS4_S6_EEv18rocblas_operation_S7_T0_S8_S8_T1_T2_lS8_S8_lT3_lS8_S8_lS9_T4_lS8_S8_l
		.amdhsa_group_segment_fixed_size 0
		.amdhsa_private_segment_fixed_size 0
		.amdhsa_kernarg_size 152
		.amdhsa_user_sgpr_count 2
		.amdhsa_user_sgpr_dispatch_ptr 0
		.amdhsa_user_sgpr_queue_ptr 0
		.amdhsa_user_sgpr_kernarg_segment_ptr 1
		.amdhsa_user_sgpr_dispatch_id 0
		.amdhsa_user_sgpr_kernarg_preload_length 0
		.amdhsa_user_sgpr_kernarg_preload_offset 0
		.amdhsa_user_sgpr_private_segment_size 0
		.amdhsa_wavefront_size32 1
		.amdhsa_uses_dynamic_stack 0
		.amdhsa_enable_private_segment 0
		.amdhsa_system_sgpr_workgroup_id_x 1
		.amdhsa_system_sgpr_workgroup_id_y 0
		.amdhsa_system_sgpr_workgroup_id_z 0
		.amdhsa_system_sgpr_workgroup_info 0
		.amdhsa_system_vgpr_workitem_id 0
		.amdhsa_next_free_vgpr 1
		.amdhsa_next_free_sgpr 1
		.amdhsa_named_barrier_count 0
		.amdhsa_reserve_vcc 0
		.amdhsa_float_round_mode_32 0
		.amdhsa_float_round_mode_16_64 0
		.amdhsa_float_denorm_mode_32 3
		.amdhsa_float_denorm_mode_16_64 3
		.amdhsa_fp16_overflow 0
		.amdhsa_memory_ordered 1
		.amdhsa_forward_progress 1
		.amdhsa_inst_pref_size 1
		.amdhsa_round_robin_scheduling 0
		.amdhsa_exception_fp_ieee_invalid_op 0
		.amdhsa_exception_fp_denorm_src 0
		.amdhsa_exception_fp_ieee_div_zero 0
		.amdhsa_exception_fp_ieee_overflow 0
		.amdhsa_exception_fp_ieee_underflow 0
		.amdhsa_exception_fp_ieee_inexact 0
		.amdhsa_exception_int_div_zero 0
	.end_amdhsa_kernel
	.section	.text._ZN9rocsolver6v33100L16mfma_gemm_kernelI19rocblas_complex_numIdEiS3_PS3_PKS4_S6_EEv18rocblas_operation_S7_T0_S8_S8_T1_T2_lS8_S8_lT3_lS8_S8_lS9_T4_lS8_S8_l,"axG",@progbits,_ZN9rocsolver6v33100L16mfma_gemm_kernelI19rocblas_complex_numIdEiS3_PS3_PKS4_S6_EEv18rocblas_operation_S7_T0_S8_S8_T1_T2_lS8_S8_lT3_lS8_S8_lS9_T4_lS8_S8_l,comdat
.Lfunc_end10:
	.size	_ZN9rocsolver6v33100L16mfma_gemm_kernelI19rocblas_complex_numIdEiS3_PS3_PKS4_S6_EEv18rocblas_operation_S7_T0_S8_S8_T1_T2_lS8_S8_lT3_lS8_S8_lS9_T4_lS8_S8_l, .Lfunc_end10-_ZN9rocsolver6v33100L16mfma_gemm_kernelI19rocblas_complex_numIdEiS3_PS3_PKS4_S6_EEv18rocblas_operation_S7_T0_S8_S8_T1_T2_lS8_S8_lT3_lS8_S8_lS9_T4_lS8_S8_l
                                        ; -- End function
	.set _ZN9rocsolver6v33100L16mfma_gemm_kernelI19rocblas_complex_numIdEiS3_PS3_PKS4_S6_EEv18rocblas_operation_S7_T0_S8_S8_T1_T2_lS8_S8_lT3_lS8_S8_lS9_T4_lS8_S8_l.num_vgpr, 0
	.set _ZN9rocsolver6v33100L16mfma_gemm_kernelI19rocblas_complex_numIdEiS3_PS3_PKS4_S6_EEv18rocblas_operation_S7_T0_S8_S8_T1_T2_lS8_S8_lT3_lS8_S8_lS9_T4_lS8_S8_l.num_agpr, 0
	.set _ZN9rocsolver6v33100L16mfma_gemm_kernelI19rocblas_complex_numIdEiS3_PS3_PKS4_S6_EEv18rocblas_operation_S7_T0_S8_S8_T1_T2_lS8_S8_lT3_lS8_S8_lS9_T4_lS8_S8_l.numbered_sgpr, 0
	.set _ZN9rocsolver6v33100L16mfma_gemm_kernelI19rocblas_complex_numIdEiS3_PS3_PKS4_S6_EEv18rocblas_operation_S7_T0_S8_S8_T1_T2_lS8_S8_lT3_lS8_S8_lS9_T4_lS8_S8_l.num_named_barrier, 0
	.set _ZN9rocsolver6v33100L16mfma_gemm_kernelI19rocblas_complex_numIdEiS3_PS3_PKS4_S6_EEv18rocblas_operation_S7_T0_S8_S8_T1_T2_lS8_S8_lT3_lS8_S8_lS9_T4_lS8_S8_l.private_seg_size, 0
	.set _ZN9rocsolver6v33100L16mfma_gemm_kernelI19rocblas_complex_numIdEiS3_PS3_PKS4_S6_EEv18rocblas_operation_S7_T0_S8_S8_T1_T2_lS8_S8_lT3_lS8_S8_lS9_T4_lS8_S8_l.uses_vcc, 0
	.set _ZN9rocsolver6v33100L16mfma_gemm_kernelI19rocblas_complex_numIdEiS3_PS3_PKS4_S6_EEv18rocblas_operation_S7_T0_S8_S8_T1_T2_lS8_S8_lT3_lS8_S8_lS9_T4_lS8_S8_l.uses_flat_scratch, 0
	.set _ZN9rocsolver6v33100L16mfma_gemm_kernelI19rocblas_complex_numIdEiS3_PS3_PKS4_S6_EEv18rocblas_operation_S7_T0_S8_S8_T1_T2_lS8_S8_lT3_lS8_S8_lS9_T4_lS8_S8_l.has_dyn_sized_stack, 0
	.set _ZN9rocsolver6v33100L16mfma_gemm_kernelI19rocblas_complex_numIdEiS3_PS3_PKS4_S6_EEv18rocblas_operation_S7_T0_S8_S8_T1_T2_lS8_S8_lT3_lS8_S8_lS9_T4_lS8_S8_l.has_recursion, 0
	.set _ZN9rocsolver6v33100L16mfma_gemm_kernelI19rocblas_complex_numIdEiS3_PS3_PKS4_S6_EEv18rocblas_operation_S7_T0_S8_S8_T1_T2_lS8_S8_lT3_lS8_S8_lS9_T4_lS8_S8_l.has_indirect_call, 0
	.section	.AMDGPU.csdata,"",@progbits
; Kernel info:
; codeLenInByte = 4
; TotalNumSgprs: 0
; NumVgprs: 0
; ScratchSize: 0
; MemoryBound: 0
; FloatMode: 240
; IeeeMode: 1
; LDSByteSize: 0 bytes/workgroup (compile time only)
; SGPRBlocks: 0
; VGPRBlocks: 0
; NumSGPRsForWavesPerEU: 1
; NumVGPRsForWavesPerEU: 1
; NamedBarCnt: 0
; Occupancy: 16
; WaveLimiterHint : 0
; COMPUTE_PGM_RSRC2:SCRATCH_EN: 0
; COMPUTE_PGM_RSRC2:USER_SGPR: 2
; COMPUTE_PGM_RSRC2:TRAP_HANDLER: 0
; COMPUTE_PGM_RSRC2:TGID_X_EN: 1
; COMPUTE_PGM_RSRC2:TGID_Y_EN: 0
; COMPUTE_PGM_RSRC2:TGID_Z_EN: 0
; COMPUTE_PGM_RSRC2:TIDIG_COMP_CNT: 0
	.section	.text._ZN9rocsolver6v33100L11gemm_kernelI19rocblas_complex_numIdEiPKS3_PS3_PKS6_S8_EEvT0_S9_S9_T1_bT2_lS9_S9_lbT3_lS9_S9_lSA_T4_lS9_S9_l,"axG",@progbits,_ZN9rocsolver6v33100L11gemm_kernelI19rocblas_complex_numIdEiPKS3_PS3_PKS6_S8_EEvT0_S9_S9_T1_bT2_lS9_S9_lbT3_lS9_S9_lSA_T4_lS9_S9_l,comdat
	.globl	_ZN9rocsolver6v33100L11gemm_kernelI19rocblas_complex_numIdEiPKS3_PS3_PKS6_S8_EEvT0_S9_S9_T1_bT2_lS9_S9_lbT3_lS9_S9_lSA_T4_lS9_S9_l ; -- Begin function _ZN9rocsolver6v33100L11gemm_kernelI19rocblas_complex_numIdEiPKS3_PS3_PKS6_S8_EEvT0_S9_S9_T1_bT2_lS9_S9_lbT3_lS9_S9_lSA_T4_lS9_S9_l
	.p2align	8
	.type	_ZN9rocsolver6v33100L11gemm_kernelI19rocblas_complex_numIdEiPKS3_PS3_PKS6_S8_EEvT0_S9_S9_T1_bT2_lS9_S9_lbT3_lS9_S9_lSA_T4_lS9_S9_l,@function
_ZN9rocsolver6v33100L11gemm_kernelI19rocblas_complex_numIdEiPKS3_PS3_PKS6_S8_EEvT0_S9_S9_T1_bT2_lS9_S9_lbT3_lS9_S9_lSA_T4_lS9_S9_l: ; @_ZN9rocsolver6v33100L11gemm_kernelI19rocblas_complex_numIdEiPKS3_PS3_PKS6_S8_EEvT0_S9_S9_T1_bT2_lS9_S9_lbT3_lS9_S9_lSA_T4_lS9_S9_l
; %bb.0:
	s_clause 0x1
	s_load_b32 s2, s[0:1], 0x9c
	s_load_b96 s[16:18], s[0:1], 0x0
	s_bfe_u32 s5, ttmp6, 0x40010
	s_bfe_u32 s8, ttmp6, 0x4000c
	s_and_b32 s4, ttmp7, 0xffff
	s_add_co_i32 s5, s5, 1
	s_add_co_i32 s8, s8, 1
	s_bfe_u32 s6, ttmp6, 0x40004
	s_and_b32 s7, ttmp6, 15
	s_mul_i32 s5, s4, s5
	s_mul_i32 s8, ttmp9, s8
	s_getreg_b32 s3, hwreg(HW_REG_IB_STS2, 6, 4)
	v_and_b32_e32 v1, 0x3ff, v0
	v_bfe_u32 v0, v0, 10, 10
	s_add_co_i32 s6, s6, s5
	s_add_co_i32 s7, s7, s8
	s_mov_b32 s21, 0
	s_wait_kmcnt 0x0
	s_lshr_b32 s5, s2, 16
	s_and_b32 s2, s2, 0xffff
	s_cmp_eq_u32 s3, 0
	s_cselect_b32 s7, ttmp9, s7
	s_cselect_b32 s4, s4, s6
	v_mad_u32 v8, s7, s2, v1
	v_mad_u32 v9, s4, s5, v0
	s_delay_alu instid0(VALU_DEP_2) | instskip(NEXT) | instid1(VALU_DEP_2)
	v_cmp_gt_i32_e32 vcc_lo, s16, v8
	v_cmp_gt_i32_e64 s2, s17, v9
	s_and_b32 s2, vcc_lo, s2
	s_delay_alu instid0(SALU_CYCLE_1)
	s_and_saveexec_b32 s4, s2
	s_cbranch_execz .LBB11_6
; %bb.1:
	s_clause 0x2
	s_load_b64 s[16:17], s[0:1], 0x78
	s_load_b64 s[22:23], s[0:1], 0x10
	s_load_b128 s[12:15], s[0:1], 0x68
	s_bfe_u32 s2, ttmp6, 0x40014
	s_lshr_b32 s4, ttmp7, 16
	s_add_co_i32 s2, s2, 1
	s_bfe_u32 s5, ttmp6, 0x40008
	s_mul_i32 s2, s4, s2
	s_delay_alu instid0(SALU_CYCLE_1)
	s_add_co_i32 s5, s5, s2
	s_cmp_eq_u32 s3, 0
	s_cselect_b32 s20, s4, s5
	s_cmp_lt_i32 s18, 1
	s_cbranch_scc1 .LBB11_4
; %bb.2:
	s_clause 0x4
	s_load_b128 s[24:27], s[0:1], 0x48
	s_load_b32 s2, s[0:1], 0x18
	s_load_b256 s[4:11], s[0:1], 0x20
	s_load_b64 s[28:29], s[0:1], 0x58
	s_load_b32 s3, s[0:1], 0x40
	s_wait_kmcnt 0x0
	s_bitcmp1_b32 s2, 0
	s_load_b64 s[24:25], s[24:25], s20 offset:0x0 scale_offset
	v_mul_lo_u32 v0, v8, s8
	v_mul_lo_u32 v2, v9, s29
	s_cselect_b32 vcc_lo, -1, 0
	s_bitcmp1_b32 s3, 0
	s_mul_u64 s[10:11], s[10:11], s[20:21]
	s_cselect_b32 s2, -1, 0
	s_lshl_b64 s[10:11], s[10:11], 4
	s_lshl_b64 s[6:7], s[6:7], 4
	s_ashr_i32 s29, s28, 31
	s_add_nc_u64 s[6:7], s[10:11], s[6:7]
	s_lshl_b64 s[10:11], s[26:27], 4
	s_delay_alu instid0(VALU_DEP_1)
	v_dual_ashrrev_i32 v1, 31, v0 :: v_dual_ashrrev_i32 v3, 31, v2
	s_add_nc_u64 s[4:5], s[4:5], s[6:7]
	s_delay_alu instid0(VALU_DEP_1) | instid1(SALU_CYCLE_1)
	v_lshl_add_u64 v[4:5], v[0:1], 4, s[4:5]
	v_mov_b64_e32 v[0:1], 0
	s_ashr_i32 s5, s9, 31
	s_wait_kmcnt 0x0
	s_add_nc_u64 s[6:7], s[24:25], s[10:11]
	s_mov_b32 s4, s9
	v_lshl_add_u64 v[2:3], v[2:3], 4, s[6:7]
	v_add_nc_u64_e32 v[4:5], 8, v[4:5]
	s_lshl_b64 s[4:5], s[4:5], 4
	s_lshl_b64 s[6:7], s[28:29], 4
	s_delay_alu instid0(VALU_DEP_2)
	v_add_nc_u64_e32 v[6:7], 8, v[2:3]
	v_mov_b64_e32 v[2:3], 0
.LBB11_3:                               ; =>This Inner Loop Header: Depth=1
	global_load_b128 v[10:13], v[4:5], off offset:-8
	flat_load_b128 v[14:17], v[6:7] offset:-8
	s_wait_xcnt 0x1
	v_add_nc_u64_e32 v[4:5], s[4:5], v[4:5]
	s_wait_xcnt 0x0
	v_add_nc_u64_e32 v[6:7], s[6:7], v[6:7]
	s_add_co_i32 s18, s18, -1
	s_delay_alu instid0(SALU_CYCLE_1) | instskip(SKIP_4) | instid1(VALU_DEP_2)
	s_cmp_eq_u32 s18, 0
	s_wait_loadcnt 0x1
	v_xor_b32_e32 v18, 0x80000000, v13
	s_wait_loadcnt_dscnt 0x0
	v_xor_b32_e32 v19, 0x80000000, v17
	v_cndmask_b32_e32 v13, v13, v18, vcc_lo
	s_delay_alu instid0(VALU_DEP_2) | instskip(NEXT) | instid1(VALU_DEP_1)
	v_cndmask_b32_e64 v17, v17, v19, s2
	v_mul_f64_e32 v[18:19], v[12:13], v[16:17]
	v_mul_f64_e32 v[12:13], v[12:13], v[14:15]
	s_delay_alu instid0(VALU_DEP_2) | instskip(NEXT) | instid1(VALU_DEP_2)
	v_fma_f64 v[14:15], v[10:11], v[14:15], -v[18:19]
	v_fmac_f64_e32 v[12:13], v[10:11], v[16:17]
	s_delay_alu instid0(VALU_DEP_2) | instskip(NEXT) | instid1(VALU_DEP_2)
	v_add_f64_e32 v[2:3], v[2:3], v[14:15]
	v_add_f64_e32 v[0:1], v[0:1], v[12:13]
	s_cbranch_scc0 .LBB11_3
	s_branch .LBB11_5
.LBB11_4:
	v_mov_b64_e32 v[0:1], 0
	v_mov_b64_e32 v[2:3], 0
.LBB11_5:
	s_wait_kmcnt 0x0
	s_load_b128 s[8:11], s[22:23], 0x0
	s_load_b128 s[4:7], s[12:13], 0x0
	s_load_b64 s[2:3], s[14:15], s20 offset:0x0 scale_offset
                                        ; kill: killed $sgpr22_sgpr23
                                        ; kill: killed $sgpr20
                                        ; kill: killed $sgpr12_sgpr13_sgpr14 killed $sgpr15
	s_nop 0
	s_load_b64 s[0:1], s[0:1], 0x80
	s_wait_kmcnt 0x0
	s_delay_alu instid0(VALU_DEP_1) | instskip(SKIP_1) | instid1(VALU_DEP_1)
	v_mul_f64_e32 v[10:11], s[8:9], v[0:1]
	v_mul_lo_u32 v4, v8, s0
	v_mad_u32 v12, v9, s1, v4
	s_lshl_b64 s[0:1], s[16:17], 4
	v_mul_f64_e32 v[8:9], s[10:11], v[0:1]
	s_add_nc_u64 s[0:1], s[2:3], s[0:1]
	flat_load_b128 v[4:7], v12, s[0:1] scale_offset
	v_fmac_f64_e32 v[10:11], s[10:11], v[2:3]
	v_fma_f64 v[8:9], s[8:9], v[2:3], -v[8:9]
	s_wait_loadcnt_dscnt 0x0
	v_mul_f64_e32 v[0:1], s[6:7], v[6:7]
	v_mul_f64_e32 v[6:7], s[4:5], v[6:7]
	s_delay_alu instid0(VALU_DEP_2) | instskip(NEXT) | instid1(VALU_DEP_2)
	v_fma_f64 v[0:1], s[4:5], v[4:5], -v[0:1]
	v_fmac_f64_e32 v[6:7], s[6:7], v[4:5]
	s_delay_alu instid0(VALU_DEP_2) | instskip(NEXT) | instid1(VALU_DEP_2)
	v_add_f64_e32 v[0:1], v[8:9], v[0:1]
	v_add_f64_e32 v[2:3], v[10:11], v[6:7]
	flat_store_b128 v12, v[0:3], s[0:1] scale_offset
.LBB11_6:
	s_endpgm
	.section	.rodata,"a",@progbits
	.p2align	6, 0x0
	.amdhsa_kernel _ZN9rocsolver6v33100L11gemm_kernelI19rocblas_complex_numIdEiPKS3_PS3_PKS6_S8_EEvT0_S9_S9_T1_bT2_lS9_S9_lbT3_lS9_S9_lSA_T4_lS9_S9_l
		.amdhsa_group_segment_fixed_size 0
		.amdhsa_private_segment_fixed_size 0
		.amdhsa_kernarg_size 400
		.amdhsa_user_sgpr_count 2
		.amdhsa_user_sgpr_dispatch_ptr 0
		.amdhsa_user_sgpr_queue_ptr 0
		.amdhsa_user_sgpr_kernarg_segment_ptr 1
		.amdhsa_user_sgpr_dispatch_id 0
		.amdhsa_user_sgpr_kernarg_preload_length 0
		.amdhsa_user_sgpr_kernarg_preload_offset 0
		.amdhsa_user_sgpr_private_segment_size 0
		.amdhsa_wavefront_size32 1
		.amdhsa_uses_dynamic_stack 0
		.amdhsa_enable_private_segment 0
		.amdhsa_system_sgpr_workgroup_id_x 1
		.amdhsa_system_sgpr_workgroup_id_y 1
		.amdhsa_system_sgpr_workgroup_id_z 1
		.amdhsa_system_sgpr_workgroup_info 0
		.amdhsa_system_vgpr_workitem_id 1
		.amdhsa_next_free_vgpr 20
		.amdhsa_next_free_sgpr 30
		.amdhsa_named_barrier_count 0
		.amdhsa_reserve_vcc 1
		.amdhsa_float_round_mode_32 0
		.amdhsa_float_round_mode_16_64 0
		.amdhsa_float_denorm_mode_32 3
		.amdhsa_float_denorm_mode_16_64 3
		.amdhsa_fp16_overflow 0
		.amdhsa_memory_ordered 1
		.amdhsa_forward_progress 1
		.amdhsa_inst_pref_size 6
		.amdhsa_round_robin_scheduling 0
		.amdhsa_exception_fp_ieee_invalid_op 0
		.amdhsa_exception_fp_denorm_src 0
		.amdhsa_exception_fp_ieee_div_zero 0
		.amdhsa_exception_fp_ieee_overflow 0
		.amdhsa_exception_fp_ieee_underflow 0
		.amdhsa_exception_fp_ieee_inexact 0
		.amdhsa_exception_int_div_zero 0
	.end_amdhsa_kernel
	.section	.text._ZN9rocsolver6v33100L11gemm_kernelI19rocblas_complex_numIdEiPKS3_PS3_PKS6_S8_EEvT0_S9_S9_T1_bT2_lS9_S9_lbT3_lS9_S9_lSA_T4_lS9_S9_l,"axG",@progbits,_ZN9rocsolver6v33100L11gemm_kernelI19rocblas_complex_numIdEiPKS3_PS3_PKS6_S8_EEvT0_S9_S9_T1_bT2_lS9_S9_lbT3_lS9_S9_lSA_T4_lS9_S9_l,comdat
.Lfunc_end11:
	.size	_ZN9rocsolver6v33100L11gemm_kernelI19rocblas_complex_numIdEiPKS3_PS3_PKS6_S8_EEvT0_S9_S9_T1_bT2_lS9_S9_lbT3_lS9_S9_lSA_T4_lS9_S9_l, .Lfunc_end11-_ZN9rocsolver6v33100L11gemm_kernelI19rocblas_complex_numIdEiPKS3_PS3_PKS6_S8_EEvT0_S9_S9_T1_bT2_lS9_S9_lbT3_lS9_S9_lSA_T4_lS9_S9_l
                                        ; -- End function
	.set _ZN9rocsolver6v33100L11gemm_kernelI19rocblas_complex_numIdEiPKS3_PS3_PKS6_S8_EEvT0_S9_S9_T1_bT2_lS9_S9_lbT3_lS9_S9_lSA_T4_lS9_S9_l.num_vgpr, 20
	.set _ZN9rocsolver6v33100L11gemm_kernelI19rocblas_complex_numIdEiPKS3_PS3_PKS6_S8_EEvT0_S9_S9_T1_bT2_lS9_S9_lbT3_lS9_S9_lSA_T4_lS9_S9_l.num_agpr, 0
	.set _ZN9rocsolver6v33100L11gemm_kernelI19rocblas_complex_numIdEiPKS3_PS3_PKS6_S8_EEvT0_S9_S9_T1_bT2_lS9_S9_lbT3_lS9_S9_lSA_T4_lS9_S9_l.numbered_sgpr, 30
	.set _ZN9rocsolver6v33100L11gemm_kernelI19rocblas_complex_numIdEiPKS3_PS3_PKS6_S8_EEvT0_S9_S9_T1_bT2_lS9_S9_lbT3_lS9_S9_lSA_T4_lS9_S9_l.num_named_barrier, 0
	.set _ZN9rocsolver6v33100L11gemm_kernelI19rocblas_complex_numIdEiPKS3_PS3_PKS6_S8_EEvT0_S9_S9_T1_bT2_lS9_S9_lbT3_lS9_S9_lSA_T4_lS9_S9_l.private_seg_size, 0
	.set _ZN9rocsolver6v33100L11gemm_kernelI19rocblas_complex_numIdEiPKS3_PS3_PKS6_S8_EEvT0_S9_S9_T1_bT2_lS9_S9_lbT3_lS9_S9_lSA_T4_lS9_S9_l.uses_vcc, 1
	.set _ZN9rocsolver6v33100L11gemm_kernelI19rocblas_complex_numIdEiPKS3_PS3_PKS6_S8_EEvT0_S9_S9_T1_bT2_lS9_S9_lbT3_lS9_S9_lSA_T4_lS9_S9_l.uses_flat_scratch, 0
	.set _ZN9rocsolver6v33100L11gemm_kernelI19rocblas_complex_numIdEiPKS3_PS3_PKS6_S8_EEvT0_S9_S9_T1_bT2_lS9_S9_lbT3_lS9_S9_lSA_T4_lS9_S9_l.has_dyn_sized_stack, 0
	.set _ZN9rocsolver6v33100L11gemm_kernelI19rocblas_complex_numIdEiPKS3_PS3_PKS6_S8_EEvT0_S9_S9_T1_bT2_lS9_S9_lbT3_lS9_S9_lSA_T4_lS9_S9_l.has_recursion, 0
	.set _ZN9rocsolver6v33100L11gemm_kernelI19rocblas_complex_numIdEiPKS3_PS3_PKS6_S8_EEvT0_S9_S9_T1_bT2_lS9_S9_lbT3_lS9_S9_lSA_T4_lS9_S9_l.has_indirect_call, 0
	.section	.AMDGPU.csdata,"",@progbits
; Kernel info:
; codeLenInByte = 760
; TotalNumSgprs: 32
; NumVgprs: 20
; ScratchSize: 0
; MemoryBound: 0
; FloatMode: 240
; IeeeMode: 1
; LDSByteSize: 0 bytes/workgroup (compile time only)
; SGPRBlocks: 0
; VGPRBlocks: 1
; NumSGPRsForWavesPerEU: 32
; NumVGPRsForWavesPerEU: 20
; NamedBarCnt: 0
; Occupancy: 16
; WaveLimiterHint : 1
; COMPUTE_PGM_RSRC2:SCRATCH_EN: 0
; COMPUTE_PGM_RSRC2:USER_SGPR: 2
; COMPUTE_PGM_RSRC2:TRAP_HANDLER: 0
; COMPUTE_PGM_RSRC2:TGID_X_EN: 1
; COMPUTE_PGM_RSRC2:TGID_Y_EN: 1
; COMPUTE_PGM_RSRC2:TGID_Z_EN: 1
; COMPUTE_PGM_RSRC2:TIDIG_COMP_CNT: 1
	.section	.text._ZN9rocsolver6v33100L11gemm_kernelI19rocblas_complex_numIdEiS3_PS3_PKS4_S6_EEvT0_S7_S7_T1_bT2_lS7_S7_lbT3_lS7_S7_lS8_T4_lS7_S7_l,"axG",@progbits,_ZN9rocsolver6v33100L11gemm_kernelI19rocblas_complex_numIdEiS3_PS3_PKS4_S6_EEvT0_S7_S7_T1_bT2_lS7_S7_lbT3_lS7_S7_lS8_T4_lS7_S7_l,comdat
	.globl	_ZN9rocsolver6v33100L11gemm_kernelI19rocblas_complex_numIdEiS3_PS3_PKS4_S6_EEvT0_S7_S7_T1_bT2_lS7_S7_lbT3_lS7_S7_lS8_T4_lS7_S7_l ; -- Begin function _ZN9rocsolver6v33100L11gemm_kernelI19rocblas_complex_numIdEiS3_PS3_PKS4_S6_EEvT0_S7_S7_T1_bT2_lS7_S7_lbT3_lS7_S7_lS8_T4_lS7_S7_l
	.p2align	8
	.type	_ZN9rocsolver6v33100L11gemm_kernelI19rocblas_complex_numIdEiS3_PS3_PKS4_S6_EEvT0_S7_S7_T1_bT2_lS7_S7_lbT3_lS7_S7_lS8_T4_lS7_S7_l,@function
_ZN9rocsolver6v33100L11gemm_kernelI19rocblas_complex_numIdEiS3_PS3_PKS4_S6_EEvT0_S7_S7_T1_bT2_lS7_S7_lbT3_lS7_S7_lS8_T4_lS7_S7_l: ; @_ZN9rocsolver6v33100L11gemm_kernelI19rocblas_complex_numIdEiS3_PS3_PKS4_S6_EEvT0_S7_S7_T1_bT2_lS7_S7_lbT3_lS7_S7_lS8_T4_lS7_S7_l
; %bb.0:
	s_clause 0x1
	s_load_b32 s2, s[0:1], 0xac
	s_load_b96 s[20:22], s[0:1], 0x0
	s_bfe_u32 s5, ttmp6, 0x40010
	s_bfe_u32 s8, ttmp6, 0x4000c
	s_and_b32 s4, ttmp7, 0xffff
	s_add_co_i32 s5, s5, 1
	s_add_co_i32 s8, s8, 1
	s_bfe_u32 s6, ttmp6, 0x40004
	s_and_b32 s7, ttmp6, 15
	s_mul_i32 s5, s4, s5
	s_mul_i32 s8, ttmp9, s8
	s_getreg_b32 s3, hwreg(HW_REG_IB_STS2, 6, 4)
	v_and_b32_e32 v1, 0x3ff, v0
	v_bfe_u32 v0, v0, 10, 10
	s_add_co_i32 s6, s6, s5
	s_add_co_i32 s7, s7, s8
	s_wait_kmcnt 0x0
	s_lshr_b32 s5, s2, 16
	s_and_b32 s2, s2, 0xffff
	s_cmp_eq_u32 s3, 0
	s_cselect_b32 s7, ttmp9, s7
	s_cselect_b32 s4, s4, s6
	v_mad_u32 v8, s7, s2, v1
	v_mad_u32 v9, s4, s5, v0
	s_delay_alu instid0(VALU_DEP_2) | instskip(NEXT) | instid1(VALU_DEP_2)
	v_cmp_gt_i32_e32 vcc_lo, s20, v8
	v_cmp_gt_i32_e64 s2, s21, v9
	s_mov_b32 s21, 0
	s_and_b32 s2, vcc_lo, s2
	s_delay_alu instid0(SALU_CYCLE_1)
	s_and_saveexec_b32 s4, s2
	s_cbranch_execz .LBB12_6
; %bb.1:
	s_load_b256 s[4:11], s[0:1], 0x70
	s_bfe_u32 s2, ttmp6, 0x40014
	s_lshr_b32 s12, ttmp7, 16
	s_add_co_i32 s2, s2, 1
	s_bfe_u32 s13, ttmp6, 0x40008
	s_mul_i32 s2, s12, s2
	s_delay_alu instid0(SALU_CYCLE_1)
	s_add_co_i32 s13, s13, s2
	s_cmp_eq_u32 s3, 0
	s_cselect_b32 s20, s12, s13
	s_cmp_lt_i32 s22, 1
	s_cbranch_scc1 .LBB12_4
; %bb.2:
	s_clause 0x4
	s_load_b128 s[24:27], s[0:1], 0x50
	s_load_b32 s2, s[0:1], 0x20
	s_load_b256 s[12:19], s[0:1], 0x28
	s_load_b64 s[28:29], s[0:1], 0x60
	s_load_b32 s3, s[0:1], 0x48
	s_wait_kmcnt 0x0
	s_bitcmp1_b32 s2, 0
	s_load_b64 s[24:25], s[24:25], s20 offset:0x0 scale_offset
	v_mul_lo_u32 v0, v8, s16
	v_mul_lo_u32 v2, v9, s29
	s_cselect_b32 vcc_lo, -1, 0
	s_bitcmp1_b32 s3, 0
	s_mul_u64 s[18:19], s[18:19], s[20:21]
	s_cselect_b32 s2, -1, 0
	s_lshl_b64 s[18:19], s[18:19], 4
	s_lshl_b64 s[14:15], s[14:15], 4
	s_ashr_i32 s29, s28, 31
	s_add_nc_u64 s[14:15], s[18:19], s[14:15]
	s_lshl_b64 s[18:19], s[26:27], 4
	s_delay_alu instid0(VALU_DEP_1)
	v_dual_ashrrev_i32 v1, 31, v0 :: v_dual_ashrrev_i32 v3, 31, v2
	s_add_nc_u64 s[12:13], s[12:13], s[14:15]
	s_delay_alu instid0(VALU_DEP_1) | instid1(SALU_CYCLE_1)
	v_lshl_add_u64 v[4:5], v[0:1], 4, s[12:13]
	v_mov_b64_e32 v[0:1], 0
	s_ashr_i32 s13, s17, 31
	s_wait_kmcnt 0x0
	s_add_nc_u64 s[14:15], s[24:25], s[18:19]
	s_mov_b32 s12, s17
	v_lshl_add_u64 v[2:3], v[2:3], 4, s[14:15]
	v_add_nc_u64_e32 v[4:5], 8, v[4:5]
	s_lshl_b64 s[12:13], s[12:13], 4
	s_lshl_b64 s[14:15], s[28:29], 4
	s_delay_alu instid0(VALU_DEP_2)
	v_add_nc_u64_e32 v[6:7], 8, v[2:3]
	v_mov_b64_e32 v[2:3], 0
.LBB12_3:                               ; =>This Inner Loop Header: Depth=1
	global_load_b128 v[10:13], v[4:5], off offset:-8
	flat_load_b128 v[14:17], v[6:7] offset:-8
	s_wait_xcnt 0x1
	v_add_nc_u64_e32 v[4:5], s[12:13], v[4:5]
	s_wait_xcnt 0x0
	v_add_nc_u64_e32 v[6:7], s[14:15], v[6:7]
	s_add_co_i32 s22, s22, -1
	s_delay_alu instid0(SALU_CYCLE_1) | instskip(SKIP_4) | instid1(VALU_DEP_2)
	s_cmp_eq_u32 s22, 0
	s_wait_loadcnt 0x1
	v_xor_b32_e32 v18, 0x80000000, v13
	s_wait_loadcnt_dscnt 0x0
	v_xor_b32_e32 v19, 0x80000000, v17
	v_cndmask_b32_e32 v13, v13, v18, vcc_lo
	s_delay_alu instid0(VALU_DEP_2) | instskip(NEXT) | instid1(VALU_DEP_1)
	v_cndmask_b32_e64 v17, v17, v19, s2
	v_mul_f64_e32 v[18:19], v[12:13], v[16:17]
	v_mul_f64_e32 v[12:13], v[12:13], v[14:15]
	s_delay_alu instid0(VALU_DEP_2) | instskip(NEXT) | instid1(VALU_DEP_2)
	v_fma_f64 v[14:15], v[10:11], v[14:15], -v[18:19]
	v_fmac_f64_e32 v[12:13], v[10:11], v[16:17]
	s_delay_alu instid0(VALU_DEP_2) | instskip(NEXT) | instid1(VALU_DEP_2)
	v_add_f64_e32 v[2:3], v[2:3], v[14:15]
	v_add_f64_e32 v[0:1], v[0:1], v[12:13]
	s_cbranch_scc0 .LBB12_3
	s_branch .LBB12_5
.LBB12_4:
	v_mov_b64_e32 v[0:1], 0
	v_mov_b64_e32 v[2:3], 0
.LBB12_5:
	s_load_b128 s[12:15], s[0:1], 0x10
	s_wait_kmcnt 0x0
	s_load_b64 s[2:3], s[8:9], s20 offset:0x0 scale_offset
                                        ; kill: killed $sgpr20
                                        ; kill: killed $sgpr8_sgpr9
	s_nop 0
	s_load_b64 s[0:1], s[0:1], 0x90
	s_delay_alu instid0(VALU_DEP_1) | instskip(SKIP_2) | instid1(VALU_DEP_1)
	v_mul_f64_e32 v[10:11], s[12:13], v[0:1]
	s_wait_kmcnt 0x0
	v_mul_lo_u32 v4, v8, s0
	v_mad_u32 v12, v9, s1, v4
	s_lshl_b64 s[0:1], s[10:11], 4
	v_mul_f64_e32 v[8:9], s[14:15], v[0:1]
	s_add_nc_u64 s[0:1], s[2:3], s[0:1]
	flat_load_b128 v[4:7], v12, s[0:1] scale_offset
	v_fmac_f64_e32 v[10:11], s[14:15], v[2:3]
	v_fma_f64 v[8:9], s[12:13], v[2:3], -v[8:9]
	s_wait_loadcnt_dscnt 0x0
	v_mul_f64_e32 v[0:1], s[6:7], v[6:7]
	v_mul_f64_e32 v[6:7], s[4:5], v[6:7]
	s_delay_alu instid0(VALU_DEP_2) | instskip(NEXT) | instid1(VALU_DEP_2)
	v_fma_f64 v[0:1], s[4:5], v[4:5], -v[0:1]
	v_fmac_f64_e32 v[6:7], s[6:7], v[4:5]
	s_delay_alu instid0(VALU_DEP_2) | instskip(NEXT) | instid1(VALU_DEP_2)
	v_add_f64_e32 v[0:1], v[8:9], v[0:1]
	v_add_f64_e32 v[2:3], v[10:11], v[6:7]
	flat_store_b128 v12, v[0:3], s[0:1] scale_offset
.LBB12_6:
	s_endpgm
	.section	.rodata,"a",@progbits
	.p2align	6, 0x0
	.amdhsa_kernel _ZN9rocsolver6v33100L11gemm_kernelI19rocblas_complex_numIdEiS3_PS3_PKS4_S6_EEvT0_S7_S7_T1_bT2_lS7_S7_lbT3_lS7_S7_lS8_T4_lS7_S7_l
		.amdhsa_group_segment_fixed_size 0
		.amdhsa_private_segment_fixed_size 0
		.amdhsa_kernarg_size 416
		.amdhsa_user_sgpr_count 2
		.amdhsa_user_sgpr_dispatch_ptr 0
		.amdhsa_user_sgpr_queue_ptr 0
		.amdhsa_user_sgpr_kernarg_segment_ptr 1
		.amdhsa_user_sgpr_dispatch_id 0
		.amdhsa_user_sgpr_kernarg_preload_length 0
		.amdhsa_user_sgpr_kernarg_preload_offset 0
		.amdhsa_user_sgpr_private_segment_size 0
		.amdhsa_wavefront_size32 1
		.amdhsa_uses_dynamic_stack 0
		.amdhsa_enable_private_segment 0
		.amdhsa_system_sgpr_workgroup_id_x 1
		.amdhsa_system_sgpr_workgroup_id_y 1
		.amdhsa_system_sgpr_workgroup_id_z 1
		.amdhsa_system_sgpr_workgroup_info 0
		.amdhsa_system_vgpr_workitem_id 1
		.amdhsa_next_free_vgpr 20
		.amdhsa_next_free_sgpr 30
		.amdhsa_named_barrier_count 0
		.amdhsa_reserve_vcc 1
		.amdhsa_float_round_mode_32 0
		.amdhsa_float_round_mode_16_64 0
		.amdhsa_float_denorm_mode_32 3
		.amdhsa_float_denorm_mode_16_64 3
		.amdhsa_fp16_overflow 0
		.amdhsa_memory_ordered 1
		.amdhsa_forward_progress 1
		.amdhsa_inst_pref_size 6
		.amdhsa_round_robin_scheduling 0
		.amdhsa_exception_fp_ieee_invalid_op 0
		.amdhsa_exception_fp_denorm_src 0
		.amdhsa_exception_fp_ieee_div_zero 0
		.amdhsa_exception_fp_ieee_overflow 0
		.amdhsa_exception_fp_ieee_underflow 0
		.amdhsa_exception_fp_ieee_inexact 0
		.amdhsa_exception_int_div_zero 0
	.end_amdhsa_kernel
	.section	.text._ZN9rocsolver6v33100L11gemm_kernelI19rocblas_complex_numIdEiS3_PS3_PKS4_S6_EEvT0_S7_S7_T1_bT2_lS7_S7_lbT3_lS7_S7_lS8_T4_lS7_S7_l,"axG",@progbits,_ZN9rocsolver6v33100L11gemm_kernelI19rocblas_complex_numIdEiS3_PS3_PKS4_S6_EEvT0_S7_S7_T1_bT2_lS7_S7_lbT3_lS7_S7_lS8_T4_lS7_S7_l,comdat
.Lfunc_end12:
	.size	_ZN9rocsolver6v33100L11gemm_kernelI19rocblas_complex_numIdEiS3_PS3_PKS4_S6_EEvT0_S7_S7_T1_bT2_lS7_S7_lbT3_lS7_S7_lS8_T4_lS7_S7_l, .Lfunc_end12-_ZN9rocsolver6v33100L11gemm_kernelI19rocblas_complex_numIdEiS3_PS3_PKS4_S6_EEvT0_S7_S7_T1_bT2_lS7_S7_lbT3_lS7_S7_lS8_T4_lS7_S7_l
                                        ; -- End function
	.set _ZN9rocsolver6v33100L11gemm_kernelI19rocblas_complex_numIdEiS3_PS3_PKS4_S6_EEvT0_S7_S7_T1_bT2_lS7_S7_lbT3_lS7_S7_lS8_T4_lS7_S7_l.num_vgpr, 20
	.set _ZN9rocsolver6v33100L11gemm_kernelI19rocblas_complex_numIdEiS3_PS3_PKS4_S6_EEvT0_S7_S7_T1_bT2_lS7_S7_lbT3_lS7_S7_lS8_T4_lS7_S7_l.num_agpr, 0
	.set _ZN9rocsolver6v33100L11gemm_kernelI19rocblas_complex_numIdEiS3_PS3_PKS4_S6_EEvT0_S7_S7_T1_bT2_lS7_S7_lbT3_lS7_S7_lS8_T4_lS7_S7_l.numbered_sgpr, 30
	.set _ZN9rocsolver6v33100L11gemm_kernelI19rocblas_complex_numIdEiS3_PS3_PKS4_S6_EEvT0_S7_S7_T1_bT2_lS7_S7_lbT3_lS7_S7_lS8_T4_lS7_S7_l.num_named_barrier, 0
	.set _ZN9rocsolver6v33100L11gemm_kernelI19rocblas_complex_numIdEiS3_PS3_PKS4_S6_EEvT0_S7_S7_T1_bT2_lS7_S7_lbT3_lS7_S7_lS8_T4_lS7_S7_l.private_seg_size, 0
	.set _ZN9rocsolver6v33100L11gemm_kernelI19rocblas_complex_numIdEiS3_PS3_PKS4_S6_EEvT0_S7_S7_T1_bT2_lS7_S7_lbT3_lS7_S7_lS8_T4_lS7_S7_l.uses_vcc, 1
	.set _ZN9rocsolver6v33100L11gemm_kernelI19rocblas_complex_numIdEiS3_PS3_PKS4_S6_EEvT0_S7_S7_T1_bT2_lS7_S7_lbT3_lS7_S7_lS8_T4_lS7_S7_l.uses_flat_scratch, 0
	.set _ZN9rocsolver6v33100L11gemm_kernelI19rocblas_complex_numIdEiS3_PS3_PKS4_S6_EEvT0_S7_S7_T1_bT2_lS7_S7_lbT3_lS7_S7_lS8_T4_lS7_S7_l.has_dyn_sized_stack, 0
	.set _ZN9rocsolver6v33100L11gemm_kernelI19rocblas_complex_numIdEiS3_PS3_PKS4_S6_EEvT0_S7_S7_T1_bT2_lS7_S7_lbT3_lS7_S7_lS8_T4_lS7_S7_l.has_recursion, 0
	.set _ZN9rocsolver6v33100L11gemm_kernelI19rocblas_complex_numIdEiS3_PS3_PKS4_S6_EEvT0_S7_S7_T1_bT2_lS7_S7_lbT3_lS7_S7_lS8_T4_lS7_S7_l.has_indirect_call, 0
	.section	.AMDGPU.csdata,"",@progbits
; Kernel info:
; codeLenInByte = 732
; TotalNumSgprs: 32
; NumVgprs: 20
; ScratchSize: 0
; MemoryBound: 0
; FloatMode: 240
; IeeeMode: 1
; LDSByteSize: 0 bytes/workgroup (compile time only)
; SGPRBlocks: 0
; VGPRBlocks: 1
; NumSGPRsForWavesPerEU: 32
; NumVGPRsForWavesPerEU: 20
; NamedBarCnt: 0
; Occupancy: 16
; WaveLimiterHint : 1
; COMPUTE_PGM_RSRC2:SCRATCH_EN: 0
; COMPUTE_PGM_RSRC2:USER_SGPR: 2
; COMPUTE_PGM_RSRC2:TRAP_HANDLER: 0
; COMPUTE_PGM_RSRC2:TGID_X_EN: 1
; COMPUTE_PGM_RSRC2:TGID_Y_EN: 1
; COMPUTE_PGM_RSRC2:TGID_Z_EN: 1
; COMPUTE_PGM_RSRC2:TIDIG_COMP_CNT: 1
	.section	.text._ZN9rocsolver6v33100L16mfma_gemm_kernelI19rocblas_complex_numIdEiPKS3_PKPS3_S6_S8_EEv18rocblas_operation_S9_T0_SA_SA_T1_T2_lSA_SA_lT3_lSA_SA_lSB_T4_lSA_SA_l,"axG",@progbits,_ZN9rocsolver6v33100L16mfma_gemm_kernelI19rocblas_complex_numIdEiPKS3_PKPS3_S6_S8_EEv18rocblas_operation_S9_T0_SA_SA_T1_T2_lSA_SA_lT3_lSA_SA_lSB_T4_lSA_SA_l,comdat
	.globl	_ZN9rocsolver6v33100L16mfma_gemm_kernelI19rocblas_complex_numIdEiPKS3_PKPS3_S6_S8_EEv18rocblas_operation_S9_T0_SA_SA_T1_T2_lSA_SA_lT3_lSA_SA_lSB_T4_lSA_SA_l ; -- Begin function _ZN9rocsolver6v33100L16mfma_gemm_kernelI19rocblas_complex_numIdEiPKS3_PKPS3_S6_S8_EEv18rocblas_operation_S9_T0_SA_SA_T1_T2_lSA_SA_lT3_lSA_SA_lSB_T4_lSA_SA_l
	.p2align	8
	.type	_ZN9rocsolver6v33100L16mfma_gemm_kernelI19rocblas_complex_numIdEiPKS3_PKPS3_S6_S8_EEv18rocblas_operation_S9_T0_SA_SA_T1_T2_lSA_SA_lT3_lSA_SA_lSB_T4_lSA_SA_l,@function
_ZN9rocsolver6v33100L16mfma_gemm_kernelI19rocblas_complex_numIdEiPKS3_PKPS3_S6_S8_EEv18rocblas_operation_S9_T0_SA_SA_T1_T2_lSA_SA_lT3_lSA_SA_lSB_T4_lSA_SA_l: ; @_ZN9rocsolver6v33100L16mfma_gemm_kernelI19rocblas_complex_numIdEiPKS3_PKPS3_S6_S8_EEv18rocblas_operation_S9_T0_SA_SA_T1_T2_lSA_SA_lT3_lSA_SA_lSB_T4_lSA_SA_l
; %bb.0:
	s_endpgm
	.section	.rodata,"a",@progbits
	.p2align	6, 0x0
	.amdhsa_kernel _ZN9rocsolver6v33100L16mfma_gemm_kernelI19rocblas_complex_numIdEiPKS3_PKPS3_S6_S8_EEv18rocblas_operation_S9_T0_SA_SA_T1_T2_lSA_SA_lT3_lSA_SA_lSB_T4_lSA_SA_l
		.amdhsa_group_segment_fixed_size 0
		.amdhsa_private_segment_fixed_size 0
		.amdhsa_kernarg_size 136
		.amdhsa_user_sgpr_count 2
		.amdhsa_user_sgpr_dispatch_ptr 0
		.amdhsa_user_sgpr_queue_ptr 0
		.amdhsa_user_sgpr_kernarg_segment_ptr 1
		.amdhsa_user_sgpr_dispatch_id 0
		.amdhsa_user_sgpr_kernarg_preload_length 0
		.amdhsa_user_sgpr_kernarg_preload_offset 0
		.amdhsa_user_sgpr_private_segment_size 0
		.amdhsa_wavefront_size32 1
		.amdhsa_uses_dynamic_stack 0
		.amdhsa_enable_private_segment 0
		.amdhsa_system_sgpr_workgroup_id_x 1
		.amdhsa_system_sgpr_workgroup_id_y 0
		.amdhsa_system_sgpr_workgroup_id_z 0
		.amdhsa_system_sgpr_workgroup_info 0
		.amdhsa_system_vgpr_workitem_id 0
		.amdhsa_next_free_vgpr 1
		.amdhsa_next_free_sgpr 1
		.amdhsa_named_barrier_count 0
		.amdhsa_reserve_vcc 0
		.amdhsa_float_round_mode_32 0
		.amdhsa_float_round_mode_16_64 0
		.amdhsa_float_denorm_mode_32 3
		.amdhsa_float_denorm_mode_16_64 3
		.amdhsa_fp16_overflow 0
		.amdhsa_memory_ordered 1
		.amdhsa_forward_progress 1
		.amdhsa_inst_pref_size 1
		.amdhsa_round_robin_scheduling 0
		.amdhsa_exception_fp_ieee_invalid_op 0
		.amdhsa_exception_fp_denorm_src 0
		.amdhsa_exception_fp_ieee_div_zero 0
		.amdhsa_exception_fp_ieee_overflow 0
		.amdhsa_exception_fp_ieee_underflow 0
		.amdhsa_exception_fp_ieee_inexact 0
		.amdhsa_exception_int_div_zero 0
	.end_amdhsa_kernel
	.section	.text._ZN9rocsolver6v33100L16mfma_gemm_kernelI19rocblas_complex_numIdEiPKS3_PKPS3_S6_S8_EEv18rocblas_operation_S9_T0_SA_SA_T1_T2_lSA_SA_lT3_lSA_SA_lSB_T4_lSA_SA_l,"axG",@progbits,_ZN9rocsolver6v33100L16mfma_gemm_kernelI19rocblas_complex_numIdEiPKS3_PKPS3_S6_S8_EEv18rocblas_operation_S9_T0_SA_SA_T1_T2_lSA_SA_lT3_lSA_SA_lSB_T4_lSA_SA_l,comdat
.Lfunc_end13:
	.size	_ZN9rocsolver6v33100L16mfma_gemm_kernelI19rocblas_complex_numIdEiPKS3_PKPS3_S6_S8_EEv18rocblas_operation_S9_T0_SA_SA_T1_T2_lSA_SA_lT3_lSA_SA_lSB_T4_lSA_SA_l, .Lfunc_end13-_ZN9rocsolver6v33100L16mfma_gemm_kernelI19rocblas_complex_numIdEiPKS3_PKPS3_S6_S8_EEv18rocblas_operation_S9_T0_SA_SA_T1_T2_lSA_SA_lT3_lSA_SA_lSB_T4_lSA_SA_l
                                        ; -- End function
	.set _ZN9rocsolver6v33100L16mfma_gemm_kernelI19rocblas_complex_numIdEiPKS3_PKPS3_S6_S8_EEv18rocblas_operation_S9_T0_SA_SA_T1_T2_lSA_SA_lT3_lSA_SA_lSB_T4_lSA_SA_l.num_vgpr, 0
	.set _ZN9rocsolver6v33100L16mfma_gemm_kernelI19rocblas_complex_numIdEiPKS3_PKPS3_S6_S8_EEv18rocblas_operation_S9_T0_SA_SA_T1_T2_lSA_SA_lT3_lSA_SA_lSB_T4_lSA_SA_l.num_agpr, 0
	.set _ZN9rocsolver6v33100L16mfma_gemm_kernelI19rocblas_complex_numIdEiPKS3_PKPS3_S6_S8_EEv18rocblas_operation_S9_T0_SA_SA_T1_T2_lSA_SA_lT3_lSA_SA_lSB_T4_lSA_SA_l.numbered_sgpr, 0
	.set _ZN9rocsolver6v33100L16mfma_gemm_kernelI19rocblas_complex_numIdEiPKS3_PKPS3_S6_S8_EEv18rocblas_operation_S9_T0_SA_SA_T1_T2_lSA_SA_lT3_lSA_SA_lSB_T4_lSA_SA_l.num_named_barrier, 0
	.set _ZN9rocsolver6v33100L16mfma_gemm_kernelI19rocblas_complex_numIdEiPKS3_PKPS3_S6_S8_EEv18rocblas_operation_S9_T0_SA_SA_T1_T2_lSA_SA_lT3_lSA_SA_lSB_T4_lSA_SA_l.private_seg_size, 0
	.set _ZN9rocsolver6v33100L16mfma_gemm_kernelI19rocblas_complex_numIdEiPKS3_PKPS3_S6_S8_EEv18rocblas_operation_S9_T0_SA_SA_T1_T2_lSA_SA_lT3_lSA_SA_lSB_T4_lSA_SA_l.uses_vcc, 0
	.set _ZN9rocsolver6v33100L16mfma_gemm_kernelI19rocblas_complex_numIdEiPKS3_PKPS3_S6_S8_EEv18rocblas_operation_S9_T0_SA_SA_T1_T2_lSA_SA_lT3_lSA_SA_lSB_T4_lSA_SA_l.uses_flat_scratch, 0
	.set _ZN9rocsolver6v33100L16mfma_gemm_kernelI19rocblas_complex_numIdEiPKS3_PKPS3_S6_S8_EEv18rocblas_operation_S9_T0_SA_SA_T1_T2_lSA_SA_lT3_lSA_SA_lSB_T4_lSA_SA_l.has_dyn_sized_stack, 0
	.set _ZN9rocsolver6v33100L16mfma_gemm_kernelI19rocblas_complex_numIdEiPKS3_PKPS3_S6_S8_EEv18rocblas_operation_S9_T0_SA_SA_T1_T2_lSA_SA_lT3_lSA_SA_lSB_T4_lSA_SA_l.has_recursion, 0
	.set _ZN9rocsolver6v33100L16mfma_gemm_kernelI19rocblas_complex_numIdEiPKS3_PKPS3_S6_S8_EEv18rocblas_operation_S9_T0_SA_SA_T1_T2_lSA_SA_lT3_lSA_SA_lSB_T4_lSA_SA_l.has_indirect_call, 0
	.section	.AMDGPU.csdata,"",@progbits
; Kernel info:
; codeLenInByte = 4
; TotalNumSgprs: 0
; NumVgprs: 0
; ScratchSize: 0
; MemoryBound: 0
; FloatMode: 240
; IeeeMode: 1
; LDSByteSize: 0 bytes/workgroup (compile time only)
; SGPRBlocks: 0
; VGPRBlocks: 0
; NumSGPRsForWavesPerEU: 1
; NumVGPRsForWavesPerEU: 1
; NamedBarCnt: 0
; Occupancy: 16
; WaveLimiterHint : 0
; COMPUTE_PGM_RSRC2:SCRATCH_EN: 0
; COMPUTE_PGM_RSRC2:USER_SGPR: 2
; COMPUTE_PGM_RSRC2:TRAP_HANDLER: 0
; COMPUTE_PGM_RSRC2:TGID_X_EN: 1
; COMPUTE_PGM_RSRC2:TGID_Y_EN: 0
; COMPUTE_PGM_RSRC2:TGID_Z_EN: 0
; COMPUTE_PGM_RSRC2:TIDIG_COMP_CNT: 0
	.section	.text._ZN9rocsolver6v33100L16mfma_gemm_kernelI19rocblas_complex_numIdEiS3_PKPS3_S4_S6_EEv18rocblas_operation_S7_T0_S8_S8_T1_T2_lS8_S8_lT3_lS8_S8_lS9_T4_lS8_S8_l,"axG",@progbits,_ZN9rocsolver6v33100L16mfma_gemm_kernelI19rocblas_complex_numIdEiS3_PKPS3_S4_S6_EEv18rocblas_operation_S7_T0_S8_S8_T1_T2_lS8_S8_lT3_lS8_S8_lS9_T4_lS8_S8_l,comdat
	.globl	_ZN9rocsolver6v33100L16mfma_gemm_kernelI19rocblas_complex_numIdEiS3_PKPS3_S4_S6_EEv18rocblas_operation_S7_T0_S8_S8_T1_T2_lS8_S8_lT3_lS8_S8_lS9_T4_lS8_S8_l ; -- Begin function _ZN9rocsolver6v33100L16mfma_gemm_kernelI19rocblas_complex_numIdEiS3_PKPS3_S4_S6_EEv18rocblas_operation_S7_T0_S8_S8_T1_T2_lS8_S8_lT3_lS8_S8_lS9_T4_lS8_S8_l
	.p2align	8
	.type	_ZN9rocsolver6v33100L16mfma_gemm_kernelI19rocblas_complex_numIdEiS3_PKPS3_S4_S6_EEv18rocblas_operation_S7_T0_S8_S8_T1_T2_lS8_S8_lT3_lS8_S8_lS9_T4_lS8_S8_l,@function
_ZN9rocsolver6v33100L16mfma_gemm_kernelI19rocblas_complex_numIdEiS3_PKPS3_S4_S6_EEv18rocblas_operation_S7_T0_S8_S8_T1_T2_lS8_S8_lT3_lS8_S8_lS9_T4_lS8_S8_l: ; @_ZN9rocsolver6v33100L16mfma_gemm_kernelI19rocblas_complex_numIdEiS3_PKPS3_S4_S6_EEv18rocblas_operation_S7_T0_S8_S8_T1_T2_lS8_S8_lT3_lS8_S8_lS9_T4_lS8_S8_l
; %bb.0:
	s_endpgm
	.section	.rodata,"a",@progbits
	.p2align	6, 0x0
	.amdhsa_kernel _ZN9rocsolver6v33100L16mfma_gemm_kernelI19rocblas_complex_numIdEiS3_PKPS3_S4_S6_EEv18rocblas_operation_S7_T0_S8_S8_T1_T2_lS8_S8_lT3_lS8_S8_lS9_T4_lS8_S8_l
		.amdhsa_group_segment_fixed_size 0
		.amdhsa_private_segment_fixed_size 0
		.amdhsa_kernarg_size 152
		.amdhsa_user_sgpr_count 2
		.amdhsa_user_sgpr_dispatch_ptr 0
		.amdhsa_user_sgpr_queue_ptr 0
		.amdhsa_user_sgpr_kernarg_segment_ptr 1
		.amdhsa_user_sgpr_dispatch_id 0
		.amdhsa_user_sgpr_kernarg_preload_length 0
		.amdhsa_user_sgpr_kernarg_preload_offset 0
		.amdhsa_user_sgpr_private_segment_size 0
		.amdhsa_wavefront_size32 1
		.amdhsa_uses_dynamic_stack 0
		.amdhsa_enable_private_segment 0
		.amdhsa_system_sgpr_workgroup_id_x 1
		.amdhsa_system_sgpr_workgroup_id_y 0
		.amdhsa_system_sgpr_workgroup_id_z 0
		.amdhsa_system_sgpr_workgroup_info 0
		.amdhsa_system_vgpr_workitem_id 0
		.amdhsa_next_free_vgpr 1
		.amdhsa_next_free_sgpr 1
		.amdhsa_named_barrier_count 0
		.amdhsa_reserve_vcc 0
		.amdhsa_float_round_mode_32 0
		.amdhsa_float_round_mode_16_64 0
		.amdhsa_float_denorm_mode_32 3
		.amdhsa_float_denorm_mode_16_64 3
		.amdhsa_fp16_overflow 0
		.amdhsa_memory_ordered 1
		.amdhsa_forward_progress 1
		.amdhsa_inst_pref_size 1
		.amdhsa_round_robin_scheduling 0
		.amdhsa_exception_fp_ieee_invalid_op 0
		.amdhsa_exception_fp_denorm_src 0
		.amdhsa_exception_fp_ieee_div_zero 0
		.amdhsa_exception_fp_ieee_overflow 0
		.amdhsa_exception_fp_ieee_underflow 0
		.amdhsa_exception_fp_ieee_inexact 0
		.amdhsa_exception_int_div_zero 0
	.end_amdhsa_kernel
	.section	.text._ZN9rocsolver6v33100L16mfma_gemm_kernelI19rocblas_complex_numIdEiS3_PKPS3_S4_S6_EEv18rocblas_operation_S7_T0_S8_S8_T1_T2_lS8_S8_lT3_lS8_S8_lS9_T4_lS8_S8_l,"axG",@progbits,_ZN9rocsolver6v33100L16mfma_gemm_kernelI19rocblas_complex_numIdEiS3_PKPS3_S4_S6_EEv18rocblas_operation_S7_T0_S8_S8_T1_T2_lS8_S8_lT3_lS8_S8_lS9_T4_lS8_S8_l,comdat
.Lfunc_end14:
	.size	_ZN9rocsolver6v33100L16mfma_gemm_kernelI19rocblas_complex_numIdEiS3_PKPS3_S4_S6_EEv18rocblas_operation_S7_T0_S8_S8_T1_T2_lS8_S8_lT3_lS8_S8_lS9_T4_lS8_S8_l, .Lfunc_end14-_ZN9rocsolver6v33100L16mfma_gemm_kernelI19rocblas_complex_numIdEiS3_PKPS3_S4_S6_EEv18rocblas_operation_S7_T0_S8_S8_T1_T2_lS8_S8_lT3_lS8_S8_lS9_T4_lS8_S8_l
                                        ; -- End function
	.set _ZN9rocsolver6v33100L16mfma_gemm_kernelI19rocblas_complex_numIdEiS3_PKPS3_S4_S6_EEv18rocblas_operation_S7_T0_S8_S8_T1_T2_lS8_S8_lT3_lS8_S8_lS9_T4_lS8_S8_l.num_vgpr, 0
	.set _ZN9rocsolver6v33100L16mfma_gemm_kernelI19rocblas_complex_numIdEiS3_PKPS3_S4_S6_EEv18rocblas_operation_S7_T0_S8_S8_T1_T2_lS8_S8_lT3_lS8_S8_lS9_T4_lS8_S8_l.num_agpr, 0
	.set _ZN9rocsolver6v33100L16mfma_gemm_kernelI19rocblas_complex_numIdEiS3_PKPS3_S4_S6_EEv18rocblas_operation_S7_T0_S8_S8_T1_T2_lS8_S8_lT3_lS8_S8_lS9_T4_lS8_S8_l.numbered_sgpr, 0
	.set _ZN9rocsolver6v33100L16mfma_gemm_kernelI19rocblas_complex_numIdEiS3_PKPS3_S4_S6_EEv18rocblas_operation_S7_T0_S8_S8_T1_T2_lS8_S8_lT3_lS8_S8_lS9_T4_lS8_S8_l.num_named_barrier, 0
	.set _ZN9rocsolver6v33100L16mfma_gemm_kernelI19rocblas_complex_numIdEiS3_PKPS3_S4_S6_EEv18rocblas_operation_S7_T0_S8_S8_T1_T2_lS8_S8_lT3_lS8_S8_lS9_T4_lS8_S8_l.private_seg_size, 0
	.set _ZN9rocsolver6v33100L16mfma_gemm_kernelI19rocblas_complex_numIdEiS3_PKPS3_S4_S6_EEv18rocblas_operation_S7_T0_S8_S8_T1_T2_lS8_S8_lT3_lS8_S8_lS9_T4_lS8_S8_l.uses_vcc, 0
	.set _ZN9rocsolver6v33100L16mfma_gemm_kernelI19rocblas_complex_numIdEiS3_PKPS3_S4_S6_EEv18rocblas_operation_S7_T0_S8_S8_T1_T2_lS8_S8_lT3_lS8_S8_lS9_T4_lS8_S8_l.uses_flat_scratch, 0
	.set _ZN9rocsolver6v33100L16mfma_gemm_kernelI19rocblas_complex_numIdEiS3_PKPS3_S4_S6_EEv18rocblas_operation_S7_T0_S8_S8_T1_T2_lS8_S8_lT3_lS8_S8_lS9_T4_lS8_S8_l.has_dyn_sized_stack, 0
	.set _ZN9rocsolver6v33100L16mfma_gemm_kernelI19rocblas_complex_numIdEiS3_PKPS3_S4_S6_EEv18rocblas_operation_S7_T0_S8_S8_T1_T2_lS8_S8_lT3_lS8_S8_lS9_T4_lS8_S8_l.has_recursion, 0
	.set _ZN9rocsolver6v33100L16mfma_gemm_kernelI19rocblas_complex_numIdEiS3_PKPS3_S4_S6_EEv18rocblas_operation_S7_T0_S8_S8_T1_T2_lS8_S8_lT3_lS8_S8_lS9_T4_lS8_S8_l.has_indirect_call, 0
	.section	.AMDGPU.csdata,"",@progbits
; Kernel info:
; codeLenInByte = 4
; TotalNumSgprs: 0
; NumVgprs: 0
; ScratchSize: 0
; MemoryBound: 0
; FloatMode: 240
; IeeeMode: 1
; LDSByteSize: 0 bytes/workgroup (compile time only)
; SGPRBlocks: 0
; VGPRBlocks: 0
; NumSGPRsForWavesPerEU: 1
; NumVGPRsForWavesPerEU: 1
; NamedBarCnt: 0
; Occupancy: 16
; WaveLimiterHint : 0
; COMPUTE_PGM_RSRC2:SCRATCH_EN: 0
; COMPUTE_PGM_RSRC2:USER_SGPR: 2
; COMPUTE_PGM_RSRC2:TRAP_HANDLER: 0
; COMPUTE_PGM_RSRC2:TGID_X_EN: 1
; COMPUTE_PGM_RSRC2:TGID_Y_EN: 0
; COMPUTE_PGM_RSRC2:TGID_Z_EN: 0
; COMPUTE_PGM_RSRC2:TIDIG_COMP_CNT: 0
	.section	.text._ZN9rocsolver6v33100L11gemm_kernelI19rocblas_complex_numIdEiPKS3_PKPS3_S6_S8_EEvT0_S9_S9_T1_bT2_lS9_S9_lbT3_lS9_S9_lSA_T4_lS9_S9_l,"axG",@progbits,_ZN9rocsolver6v33100L11gemm_kernelI19rocblas_complex_numIdEiPKS3_PKPS3_S6_S8_EEvT0_S9_S9_T1_bT2_lS9_S9_lbT3_lS9_S9_lSA_T4_lS9_S9_l,comdat
	.globl	_ZN9rocsolver6v33100L11gemm_kernelI19rocblas_complex_numIdEiPKS3_PKPS3_S6_S8_EEvT0_S9_S9_T1_bT2_lS9_S9_lbT3_lS9_S9_lSA_T4_lS9_S9_l ; -- Begin function _ZN9rocsolver6v33100L11gemm_kernelI19rocblas_complex_numIdEiPKS3_PKPS3_S6_S8_EEvT0_S9_S9_T1_bT2_lS9_S9_lbT3_lS9_S9_lSA_T4_lS9_S9_l
	.p2align	8
	.type	_ZN9rocsolver6v33100L11gemm_kernelI19rocblas_complex_numIdEiPKS3_PKPS3_S6_S8_EEvT0_S9_S9_T1_bT2_lS9_S9_lbT3_lS9_S9_lSA_T4_lS9_S9_l,@function
_ZN9rocsolver6v33100L11gemm_kernelI19rocblas_complex_numIdEiPKS3_PKPS3_S6_S8_EEvT0_S9_S9_T1_bT2_lS9_S9_lbT3_lS9_S9_lSA_T4_lS9_S9_l: ; @_ZN9rocsolver6v33100L11gemm_kernelI19rocblas_complex_numIdEiPKS3_PKPS3_S6_S8_EEvT0_S9_S9_T1_bT2_lS9_S9_lbT3_lS9_S9_lSA_T4_lS9_S9_l
; %bb.0:
	s_clause 0x1
	s_load_b32 s2, s[0:1], 0x9c
	s_load_b96 s[12:14], s[0:1], 0x0
	s_bfe_u32 s5, ttmp6, 0x40010
	s_bfe_u32 s8, ttmp6, 0x4000c
	s_and_b32 s4, ttmp7, 0xffff
	s_add_co_i32 s5, s5, 1
	s_add_co_i32 s8, s8, 1
	s_bfe_u32 s6, ttmp6, 0x40004
	s_and_b32 s7, ttmp6, 15
	s_mul_i32 s5, s4, s5
	s_mul_i32 s8, ttmp9, s8
	s_getreg_b32 s3, hwreg(HW_REG_IB_STS2, 6, 4)
	v_and_b32_e32 v1, 0x3ff, v0
	v_bfe_u32 v0, v0, 10, 10
	s_add_co_i32 s6, s6, s5
	s_add_co_i32 s7, s7, s8
	s_mov_b32 s21, 0
	s_wait_kmcnt 0x0
	s_lshr_b32 s5, s2, 16
	s_and_b32 s2, s2, 0xffff
	s_cmp_eq_u32 s3, 0
	s_cselect_b32 s7, ttmp9, s7
	s_cselect_b32 s4, s4, s6
	v_mad_u32 v8, s7, s2, v1
	v_mad_u32 v9, s4, s5, v0
	s_delay_alu instid0(VALU_DEP_2) | instskip(NEXT) | instid1(VALU_DEP_2)
	v_cmp_gt_i32_e32 vcc_lo, s12, v8
	v_cmp_gt_i32_e64 s2, s13, v9
	s_and_b32 s2, vcc_lo, s2
	s_delay_alu instid0(SALU_CYCLE_1)
	s_and_saveexec_b32 s4, s2
	s_cbranch_execz .LBB15_6
; %bb.1:
	s_clause 0x1
	s_load_b64 s[22:23], s[0:1], 0x10
	s_load_b256 s[4:11], s[0:1], 0x60
	s_bfe_u32 s2, ttmp6, 0x40014
	s_lshr_b32 s12, ttmp7, 16
	s_add_co_i32 s2, s2, 1
	s_bfe_u32 s13, ttmp6, 0x40008
	s_mul_i32 s2, s12, s2
	s_delay_alu instid0(SALU_CYCLE_1)
	s_add_co_i32 s13, s13, s2
	s_cmp_eq_u32 s3, 0
	s_cselect_b32 s20, s12, s13
	s_cmp_lt_i32 s14, 1
	s_cbranch_scc1 .LBB15_4
; %bb.2:
	s_clause 0x5
	s_load_b128 s[16:19], s[0:1], 0x20
	s_load_b32 s15, s[0:1], 0x18
	s_load_b64 s[12:13], s[0:1], 0x58
	s_load_b64 s[2:3], s[0:1], 0x30
	s_load_b32 s28, s[0:1], 0x40
	s_load_b128 s[24:27], s[0:1], 0x48
	s_wait_kmcnt 0x0
	s_mul_u64 s[4:5], s[4:5], s[20:21]
	s_load_b64 s[16:17], s[16:17], s20 offset:0x0 scale_offset
	s_bitcmp1_b32 s15, 0
	v_mul_lo_u32 v0, v9, s13
	v_mul_lo_u32 v2, v8, s2
	s_cselect_b32 vcc_lo, -1, 0
	s_bitcmp1_b32 s28, 0
	s_cselect_b32 s2, -1, 0
	s_lshl_b64 s[4:5], s[4:5], 4
	s_lshl_b64 s[26:27], s[26:27], 4
	;; [unrolled: 1-line block ×3, first 2 shown]
	s_add_nc_u64 s[4:5], s[4:5], s[26:27]
	s_ashr_i32 s13, s12, 31
	s_delay_alu instid0(VALU_DEP_1) | instskip(SKIP_2) | instid1(VALU_DEP_1)
	v_dual_ashrrev_i32 v1, 31, v0 :: v_dual_ashrrev_i32 v3, 31, v2
	s_add_nc_u64 s[4:5], s[24:25], s[4:5]
	s_lshl_b64 s[12:13], s[12:13], 4
	v_lshl_add_u64 v[4:5], v[0:1], 4, s[4:5]
	v_mov_b64_e32 v[0:1], 0
	s_wait_kmcnt 0x0
	s_add_nc_u64 s[16:17], s[16:17], s[18:19]
	s_ashr_i32 s5, s3, 31
	v_lshl_add_u64 v[2:3], v[2:3], 4, s[16:17]
	v_add_nc_u64_e32 v[4:5], 8, v[4:5]
	s_mov_b32 s4, s3
	s_delay_alu instid0(SALU_CYCLE_1) | instskip(NEXT) | instid1(VALU_DEP_2)
	s_lshl_b64 s[4:5], s[4:5], 4
	v_add_nc_u64_e32 v[6:7], 8, v[2:3]
	v_mov_b64_e32 v[2:3], 0
.LBB15_3:                               ; =>This Inner Loop Header: Depth=1
	flat_load_b128 v[10:13], v[6:7] offset:-8
	global_load_b128 v[14:17], v[4:5], off offset:-8
	s_wait_xcnt 0x1
	v_add_nc_u64_e32 v[6:7], s[4:5], v[6:7]
	s_wait_xcnt 0x0
	v_add_nc_u64_e32 v[4:5], s[12:13], v[4:5]
	s_add_co_i32 s14, s14, -1
	s_delay_alu instid0(SALU_CYCLE_1) | instskip(SKIP_4) | instid1(VALU_DEP_2)
	s_cmp_eq_u32 s14, 0
	s_wait_loadcnt_dscnt 0x100
	v_xor_b32_e32 v18, 0x80000000, v13
	s_wait_loadcnt 0x0
	v_xor_b32_e32 v19, 0x80000000, v17
	v_cndmask_b32_e32 v13, v13, v18, vcc_lo
	s_delay_alu instid0(VALU_DEP_2) | instskip(NEXT) | instid1(VALU_DEP_1)
	v_cndmask_b32_e64 v17, v17, v19, s2
	v_mul_f64_e32 v[18:19], v[12:13], v[16:17]
	v_mul_f64_e32 v[12:13], v[12:13], v[14:15]
	s_delay_alu instid0(VALU_DEP_2) | instskip(NEXT) | instid1(VALU_DEP_2)
	v_fma_f64 v[14:15], v[10:11], v[14:15], -v[18:19]
	v_fmac_f64_e32 v[12:13], v[10:11], v[16:17]
	s_delay_alu instid0(VALU_DEP_2) | instskip(NEXT) | instid1(VALU_DEP_2)
	v_add_f64_e32 v[2:3], v[2:3], v[14:15]
	v_add_f64_e32 v[0:1], v[0:1], v[12:13]
	s_cbranch_scc0 .LBB15_3
	s_branch .LBB15_5
.LBB15_4:
	v_mov_b64_e32 v[0:1], 0
	v_mov_b64_e32 v[2:3], 0
.LBB15_5:
	s_wait_kmcnt 0x0
	s_load_b128 s[16:19], s[22:23], 0x0
	s_load_b128 s[12:15], s[6:7], 0x0
	s_load_b64 s[2:3], s[8:9], s20 offset:0x0 scale_offset
                                        ; kill: killed $sgpr22_sgpr23
                                        ; kill: killed $sgpr20
                                        ; kill: killed $sgpr6_sgpr7 killed $sgpr8_sgpr9
	s_nop 0
	s_load_b64 s[0:1], s[0:1], 0x80
	s_wait_kmcnt 0x0
	s_delay_alu instid0(VALU_DEP_1) | instskip(SKIP_1) | instid1(VALU_DEP_1)
	v_mul_f64_e32 v[10:11], s[16:17], v[0:1]
	v_mul_lo_u32 v4, v8, s0
	v_mad_u32 v12, v9, s1, v4
	s_lshl_b64 s[0:1], s[10:11], 4
	v_mul_f64_e32 v[8:9], s[18:19], v[0:1]
	s_add_nc_u64 s[0:1], s[2:3], s[0:1]
	flat_load_b128 v[4:7], v12, s[0:1] scale_offset
	v_fmac_f64_e32 v[10:11], s[18:19], v[2:3]
	v_fma_f64 v[8:9], s[16:17], v[2:3], -v[8:9]
	s_wait_loadcnt_dscnt 0x0
	v_mul_f64_e32 v[0:1], s[14:15], v[6:7]
	v_mul_f64_e32 v[6:7], s[12:13], v[6:7]
	s_delay_alu instid0(VALU_DEP_2) | instskip(NEXT) | instid1(VALU_DEP_2)
	v_fma_f64 v[0:1], s[12:13], v[4:5], -v[0:1]
	v_fmac_f64_e32 v[6:7], s[14:15], v[4:5]
	s_delay_alu instid0(VALU_DEP_2) | instskip(NEXT) | instid1(VALU_DEP_2)
	v_add_f64_e32 v[0:1], v[8:9], v[0:1]
	v_add_f64_e32 v[2:3], v[10:11], v[6:7]
	flat_store_b128 v12, v[0:3], s[0:1] scale_offset
.LBB15_6:
	s_endpgm
	.section	.rodata,"a",@progbits
	.p2align	6, 0x0
	.amdhsa_kernel _ZN9rocsolver6v33100L11gemm_kernelI19rocblas_complex_numIdEiPKS3_PKPS3_S6_S8_EEvT0_S9_S9_T1_bT2_lS9_S9_lbT3_lS9_S9_lSA_T4_lS9_S9_l
		.amdhsa_group_segment_fixed_size 0
		.amdhsa_private_segment_fixed_size 0
		.amdhsa_kernarg_size 400
		.amdhsa_user_sgpr_count 2
		.amdhsa_user_sgpr_dispatch_ptr 0
		.amdhsa_user_sgpr_queue_ptr 0
		.amdhsa_user_sgpr_kernarg_segment_ptr 1
		.amdhsa_user_sgpr_dispatch_id 0
		.amdhsa_user_sgpr_kernarg_preload_length 0
		.amdhsa_user_sgpr_kernarg_preload_offset 0
		.amdhsa_user_sgpr_private_segment_size 0
		.amdhsa_wavefront_size32 1
		.amdhsa_uses_dynamic_stack 0
		.amdhsa_enable_private_segment 0
		.amdhsa_system_sgpr_workgroup_id_x 1
		.amdhsa_system_sgpr_workgroup_id_y 1
		.amdhsa_system_sgpr_workgroup_id_z 1
		.amdhsa_system_sgpr_workgroup_info 0
		.amdhsa_system_vgpr_workitem_id 1
		.amdhsa_next_free_vgpr 20
		.amdhsa_next_free_sgpr 29
		.amdhsa_named_barrier_count 0
		.amdhsa_reserve_vcc 1
		.amdhsa_float_round_mode_32 0
		.amdhsa_float_round_mode_16_64 0
		.amdhsa_float_denorm_mode_32 3
		.amdhsa_float_denorm_mode_16_64 3
		.amdhsa_fp16_overflow 0
		.amdhsa_memory_ordered 1
		.amdhsa_forward_progress 1
		.amdhsa_inst_pref_size 6
		.amdhsa_round_robin_scheduling 0
		.amdhsa_exception_fp_ieee_invalid_op 0
		.amdhsa_exception_fp_denorm_src 0
		.amdhsa_exception_fp_ieee_div_zero 0
		.amdhsa_exception_fp_ieee_overflow 0
		.amdhsa_exception_fp_ieee_underflow 0
		.amdhsa_exception_fp_ieee_inexact 0
		.amdhsa_exception_int_div_zero 0
	.end_amdhsa_kernel
	.section	.text._ZN9rocsolver6v33100L11gemm_kernelI19rocblas_complex_numIdEiPKS3_PKPS3_S6_S8_EEvT0_S9_S9_T1_bT2_lS9_S9_lbT3_lS9_S9_lSA_T4_lS9_S9_l,"axG",@progbits,_ZN9rocsolver6v33100L11gemm_kernelI19rocblas_complex_numIdEiPKS3_PKPS3_S6_S8_EEvT0_S9_S9_T1_bT2_lS9_S9_lbT3_lS9_S9_lSA_T4_lS9_S9_l,comdat
.Lfunc_end15:
	.size	_ZN9rocsolver6v33100L11gemm_kernelI19rocblas_complex_numIdEiPKS3_PKPS3_S6_S8_EEvT0_S9_S9_T1_bT2_lS9_S9_lbT3_lS9_S9_lSA_T4_lS9_S9_l, .Lfunc_end15-_ZN9rocsolver6v33100L11gemm_kernelI19rocblas_complex_numIdEiPKS3_PKPS3_S6_S8_EEvT0_S9_S9_T1_bT2_lS9_S9_lbT3_lS9_S9_lSA_T4_lS9_S9_l
                                        ; -- End function
	.set _ZN9rocsolver6v33100L11gemm_kernelI19rocblas_complex_numIdEiPKS3_PKPS3_S6_S8_EEvT0_S9_S9_T1_bT2_lS9_S9_lbT3_lS9_S9_lSA_T4_lS9_S9_l.num_vgpr, 20
	.set _ZN9rocsolver6v33100L11gemm_kernelI19rocblas_complex_numIdEiPKS3_PKPS3_S6_S8_EEvT0_S9_S9_T1_bT2_lS9_S9_lbT3_lS9_S9_lSA_T4_lS9_S9_l.num_agpr, 0
	.set _ZN9rocsolver6v33100L11gemm_kernelI19rocblas_complex_numIdEiPKS3_PKPS3_S6_S8_EEvT0_S9_S9_T1_bT2_lS9_S9_lbT3_lS9_S9_lSA_T4_lS9_S9_l.numbered_sgpr, 29
	.set _ZN9rocsolver6v33100L11gemm_kernelI19rocblas_complex_numIdEiPKS3_PKPS3_S6_S8_EEvT0_S9_S9_T1_bT2_lS9_S9_lbT3_lS9_S9_lSA_T4_lS9_S9_l.num_named_barrier, 0
	.set _ZN9rocsolver6v33100L11gemm_kernelI19rocblas_complex_numIdEiPKS3_PKPS3_S6_S8_EEvT0_S9_S9_T1_bT2_lS9_S9_lbT3_lS9_S9_lSA_T4_lS9_S9_l.private_seg_size, 0
	.set _ZN9rocsolver6v33100L11gemm_kernelI19rocblas_complex_numIdEiPKS3_PKPS3_S6_S8_EEvT0_S9_S9_T1_bT2_lS9_S9_lbT3_lS9_S9_lSA_T4_lS9_S9_l.uses_vcc, 1
	.set _ZN9rocsolver6v33100L11gemm_kernelI19rocblas_complex_numIdEiPKS3_PKPS3_S6_S8_EEvT0_S9_S9_T1_bT2_lS9_S9_lbT3_lS9_S9_lSA_T4_lS9_S9_l.uses_flat_scratch, 0
	.set _ZN9rocsolver6v33100L11gemm_kernelI19rocblas_complex_numIdEiPKS3_PKPS3_S6_S8_EEvT0_S9_S9_T1_bT2_lS9_S9_lbT3_lS9_S9_lSA_T4_lS9_S9_l.has_dyn_sized_stack, 0
	.set _ZN9rocsolver6v33100L11gemm_kernelI19rocblas_complex_numIdEiPKS3_PKPS3_S6_S8_EEvT0_S9_S9_T1_bT2_lS9_S9_lbT3_lS9_S9_lSA_T4_lS9_S9_l.has_recursion, 0
	.set _ZN9rocsolver6v33100L11gemm_kernelI19rocblas_complex_numIdEiPKS3_PKPS3_S6_S8_EEvT0_S9_S9_T1_bT2_lS9_S9_lbT3_lS9_S9_lSA_T4_lS9_S9_l.has_indirect_call, 0
	.section	.AMDGPU.csdata,"",@progbits
; Kernel info:
; codeLenInByte = 756
; TotalNumSgprs: 31
; NumVgprs: 20
; ScratchSize: 0
; MemoryBound: 0
; FloatMode: 240
; IeeeMode: 1
; LDSByteSize: 0 bytes/workgroup (compile time only)
; SGPRBlocks: 0
; VGPRBlocks: 1
; NumSGPRsForWavesPerEU: 31
; NumVGPRsForWavesPerEU: 20
; NamedBarCnt: 0
; Occupancy: 16
; WaveLimiterHint : 1
; COMPUTE_PGM_RSRC2:SCRATCH_EN: 0
; COMPUTE_PGM_RSRC2:USER_SGPR: 2
; COMPUTE_PGM_RSRC2:TRAP_HANDLER: 0
; COMPUTE_PGM_RSRC2:TGID_X_EN: 1
; COMPUTE_PGM_RSRC2:TGID_Y_EN: 1
; COMPUTE_PGM_RSRC2:TGID_Z_EN: 1
; COMPUTE_PGM_RSRC2:TIDIG_COMP_CNT: 1
	.section	.text._ZN9rocsolver6v33100L11gemm_kernelI19rocblas_complex_numIdEiS3_PKPS3_S4_S6_EEvT0_S7_S7_T1_bT2_lS7_S7_lbT3_lS7_S7_lS8_T4_lS7_S7_l,"axG",@progbits,_ZN9rocsolver6v33100L11gemm_kernelI19rocblas_complex_numIdEiS3_PKPS3_S4_S6_EEvT0_S7_S7_T1_bT2_lS7_S7_lbT3_lS7_S7_lS8_T4_lS7_S7_l,comdat
	.globl	_ZN9rocsolver6v33100L11gemm_kernelI19rocblas_complex_numIdEiS3_PKPS3_S4_S6_EEvT0_S7_S7_T1_bT2_lS7_S7_lbT3_lS7_S7_lS8_T4_lS7_S7_l ; -- Begin function _ZN9rocsolver6v33100L11gemm_kernelI19rocblas_complex_numIdEiS3_PKPS3_S4_S6_EEvT0_S7_S7_T1_bT2_lS7_S7_lbT3_lS7_S7_lS8_T4_lS7_S7_l
	.p2align	8
	.type	_ZN9rocsolver6v33100L11gemm_kernelI19rocblas_complex_numIdEiS3_PKPS3_S4_S6_EEvT0_S7_S7_T1_bT2_lS7_S7_lbT3_lS7_S7_lS8_T4_lS7_S7_l,@function
_ZN9rocsolver6v33100L11gemm_kernelI19rocblas_complex_numIdEiS3_PKPS3_S4_S6_EEvT0_S7_S7_T1_bT2_lS7_S7_lbT3_lS7_S7_lS8_T4_lS7_S7_l: ; @_ZN9rocsolver6v33100L11gemm_kernelI19rocblas_complex_numIdEiS3_PKPS3_S4_S6_EEvT0_S7_S7_T1_bT2_lS7_S7_lbT3_lS7_S7_lS8_T4_lS7_S7_l
; %bb.0:
	s_clause 0x1
	s_load_b32 s2, s[0:1], 0xac
	s_load_b96 s[12:14], s[0:1], 0x0
	s_bfe_u32 s5, ttmp6, 0x40010
	s_bfe_u32 s8, ttmp6, 0x4000c
	s_and_b32 s4, ttmp7, 0xffff
	s_add_co_i32 s5, s5, 1
	s_add_co_i32 s8, s8, 1
	s_bfe_u32 s6, ttmp6, 0x40004
	s_and_b32 s7, ttmp6, 15
	s_mul_i32 s5, s4, s5
	s_mul_i32 s8, ttmp9, s8
	s_getreg_b32 s3, hwreg(HW_REG_IB_STS2, 6, 4)
	v_and_b32_e32 v1, 0x3ff, v0
	v_bfe_u32 v0, v0, 10, 10
	s_add_co_i32 s6, s6, s5
	s_add_co_i32 s7, s7, s8
	s_mov_b32 s19, 0
	s_wait_kmcnt 0x0
	s_lshr_b32 s5, s2, 16
	s_and_b32 s2, s2, 0xffff
	s_cmp_eq_u32 s3, 0
	s_cselect_b32 s7, ttmp9, s7
	s_cselect_b32 s4, s4, s6
	v_mad_u32 v8, s7, s2, v1
	v_mad_u32 v9, s4, s5, v0
	s_delay_alu instid0(VALU_DEP_2) | instskip(NEXT) | instid1(VALU_DEP_2)
	v_cmp_gt_i32_e32 vcc_lo, s12, v8
	v_cmp_gt_i32_e64 s2, s13, v9
	s_and_b32 s2, vcc_lo, s2
	s_delay_alu instid0(SALU_CYCLE_1)
	s_and_saveexec_b32 s4, s2
	s_cbranch_execz .LBB16_6
; %bb.1:
	s_clause 0x1
	s_load_b64 s[16:17], s[0:1], 0x88
	s_load_b256 s[4:11], s[0:1], 0x68
	s_bfe_u32 s2, ttmp6, 0x40014
	s_lshr_b32 s12, ttmp7, 16
	s_add_co_i32 s2, s2, 1
	s_bfe_u32 s13, ttmp6, 0x40008
	s_mul_i32 s2, s12, s2
	s_delay_alu instid0(SALU_CYCLE_1)
	s_add_co_i32 s13, s13, s2
	s_cmp_eq_u32 s3, 0
	s_cselect_b32 s18, s12, s13
	s_cmp_lt_i32 s14, 1
	s_cbranch_scc1 .LBB16_4
; %bb.2:
	s_clause 0x5
	s_load_b128 s[20:23], s[0:1], 0x28
	s_load_b32 s15, s[0:1], 0x20
	s_load_b64 s[12:13], s[0:1], 0x60
	s_load_b64 s[2:3], s[0:1], 0x38
	s_load_b32 s28, s[0:1], 0x48
	s_load_b128 s[24:27], s[0:1], 0x50
	s_wait_kmcnt 0x0
	s_mul_u64 s[4:5], s[4:5], s[18:19]
	s_load_b64 s[20:21], s[20:21], s18 offset:0x0 scale_offset
	s_bitcmp1_b32 s15, 0
	v_mul_lo_u32 v0, v9, s13
	v_mul_lo_u32 v2, v8, s2
	s_cselect_b32 vcc_lo, -1, 0
	s_bitcmp1_b32 s28, 0
	s_cselect_b32 s2, -1, 0
	s_lshl_b64 s[4:5], s[4:5], 4
	s_lshl_b64 s[26:27], s[26:27], 4
	;; [unrolled: 1-line block ×3, first 2 shown]
	s_add_nc_u64 s[4:5], s[4:5], s[26:27]
	s_ashr_i32 s13, s12, 31
	s_delay_alu instid0(VALU_DEP_1) | instskip(SKIP_2) | instid1(VALU_DEP_1)
	v_dual_ashrrev_i32 v1, 31, v0 :: v_dual_ashrrev_i32 v3, 31, v2
	s_add_nc_u64 s[4:5], s[24:25], s[4:5]
	s_lshl_b64 s[12:13], s[12:13], 4
	v_lshl_add_u64 v[4:5], v[0:1], 4, s[4:5]
	v_mov_b64_e32 v[0:1], 0
	s_wait_kmcnt 0x0
	s_add_nc_u64 s[20:21], s[20:21], s[22:23]
	s_ashr_i32 s5, s3, 31
	v_lshl_add_u64 v[2:3], v[2:3], 4, s[20:21]
	v_add_nc_u64_e32 v[4:5], 8, v[4:5]
	s_mov_b32 s4, s3
	s_delay_alu instid0(SALU_CYCLE_1) | instskip(NEXT) | instid1(VALU_DEP_2)
	s_lshl_b64 s[4:5], s[4:5], 4
	v_add_nc_u64_e32 v[6:7], 8, v[2:3]
	v_mov_b64_e32 v[2:3], 0
.LBB16_3:                               ; =>This Inner Loop Header: Depth=1
	flat_load_b128 v[10:13], v[6:7] offset:-8
	global_load_b128 v[14:17], v[4:5], off offset:-8
	s_wait_xcnt 0x1
	v_add_nc_u64_e32 v[6:7], s[4:5], v[6:7]
	s_wait_xcnt 0x0
	v_add_nc_u64_e32 v[4:5], s[12:13], v[4:5]
	s_add_co_i32 s14, s14, -1
	s_delay_alu instid0(SALU_CYCLE_1) | instskip(SKIP_4) | instid1(VALU_DEP_2)
	s_cmp_eq_u32 s14, 0
	s_wait_loadcnt_dscnt 0x100
	v_xor_b32_e32 v18, 0x80000000, v13
	s_wait_loadcnt 0x0
	v_xor_b32_e32 v19, 0x80000000, v17
	v_cndmask_b32_e32 v13, v13, v18, vcc_lo
	s_delay_alu instid0(VALU_DEP_2) | instskip(NEXT) | instid1(VALU_DEP_1)
	v_cndmask_b32_e64 v17, v17, v19, s2
	v_mul_f64_e32 v[18:19], v[12:13], v[16:17]
	v_mul_f64_e32 v[12:13], v[12:13], v[14:15]
	s_delay_alu instid0(VALU_DEP_2) | instskip(NEXT) | instid1(VALU_DEP_2)
	v_fma_f64 v[14:15], v[10:11], v[14:15], -v[18:19]
	v_fmac_f64_e32 v[12:13], v[10:11], v[16:17]
	s_delay_alu instid0(VALU_DEP_2) | instskip(NEXT) | instid1(VALU_DEP_2)
	v_add_f64_e32 v[2:3], v[2:3], v[14:15]
	v_add_f64_e32 v[0:1], v[0:1], v[12:13]
	s_cbranch_scc0 .LBB16_3
	s_branch .LBB16_5
.LBB16_4:
	v_mov_b64_e32 v[0:1], 0
	v_mov_b64_e32 v[2:3], 0
.LBB16_5:
	s_load_b128 s[12:15], s[0:1], 0x10
	s_wait_kmcnt 0x0
	s_load_b64 s[2:3], s[10:11], s18 offset:0x0 scale_offset
                                        ; kill: killed $sgpr10_sgpr11
                                        ; kill: killed $sgpr18
	s_nop 0
	s_load_b64 s[0:1], s[0:1], 0x90
	s_delay_alu instid0(VALU_DEP_1) | instskip(SKIP_2) | instid1(VALU_DEP_1)
	v_mul_f64_e32 v[10:11], s[12:13], v[0:1]
	s_wait_kmcnt 0x0
	v_mul_lo_u32 v4, v8, s0
	v_mad_u32 v12, v9, s1, v4
	s_lshl_b64 s[0:1], s[16:17], 4
	v_mul_f64_e32 v[8:9], s[14:15], v[0:1]
	s_add_nc_u64 s[0:1], s[2:3], s[0:1]
	flat_load_b128 v[4:7], v12, s[0:1] scale_offset
	v_fmac_f64_e32 v[10:11], s[14:15], v[2:3]
	v_fma_f64 v[8:9], s[12:13], v[2:3], -v[8:9]
	s_wait_loadcnt_dscnt 0x0
	v_mul_f64_e32 v[0:1], s[8:9], v[6:7]
	v_mul_f64_e32 v[6:7], s[6:7], v[6:7]
	s_delay_alu instid0(VALU_DEP_2) | instskip(NEXT) | instid1(VALU_DEP_2)
	v_fma_f64 v[0:1], s[6:7], v[4:5], -v[0:1]
	v_fmac_f64_e32 v[6:7], s[8:9], v[4:5]
	s_delay_alu instid0(VALU_DEP_2) | instskip(NEXT) | instid1(VALU_DEP_2)
	v_add_f64_e32 v[0:1], v[8:9], v[0:1]
	v_add_f64_e32 v[2:3], v[10:11], v[6:7]
	flat_store_b128 v12, v[0:3], s[0:1] scale_offset
.LBB16_6:
	s_endpgm
	.section	.rodata,"a",@progbits
	.p2align	6, 0x0
	.amdhsa_kernel _ZN9rocsolver6v33100L11gemm_kernelI19rocblas_complex_numIdEiS3_PKPS3_S4_S6_EEvT0_S7_S7_T1_bT2_lS7_S7_lbT3_lS7_S7_lS8_T4_lS7_S7_l
		.amdhsa_group_segment_fixed_size 0
		.amdhsa_private_segment_fixed_size 0
		.amdhsa_kernarg_size 416
		.amdhsa_user_sgpr_count 2
		.amdhsa_user_sgpr_dispatch_ptr 0
		.amdhsa_user_sgpr_queue_ptr 0
		.amdhsa_user_sgpr_kernarg_segment_ptr 1
		.amdhsa_user_sgpr_dispatch_id 0
		.amdhsa_user_sgpr_kernarg_preload_length 0
		.amdhsa_user_sgpr_kernarg_preload_offset 0
		.amdhsa_user_sgpr_private_segment_size 0
		.amdhsa_wavefront_size32 1
		.amdhsa_uses_dynamic_stack 0
		.amdhsa_enable_private_segment 0
		.amdhsa_system_sgpr_workgroup_id_x 1
		.amdhsa_system_sgpr_workgroup_id_y 1
		.amdhsa_system_sgpr_workgroup_id_z 1
		.amdhsa_system_sgpr_workgroup_info 0
		.amdhsa_system_vgpr_workitem_id 1
		.amdhsa_next_free_vgpr 20
		.amdhsa_next_free_sgpr 29
		.amdhsa_named_barrier_count 0
		.amdhsa_reserve_vcc 1
		.amdhsa_float_round_mode_32 0
		.amdhsa_float_round_mode_16_64 0
		.amdhsa_float_denorm_mode_32 3
		.amdhsa_float_denorm_mode_16_64 3
		.amdhsa_fp16_overflow 0
		.amdhsa_memory_ordered 1
		.amdhsa_forward_progress 1
		.amdhsa_inst_pref_size 6
		.amdhsa_round_robin_scheduling 0
		.amdhsa_exception_fp_ieee_invalid_op 0
		.amdhsa_exception_fp_denorm_src 0
		.amdhsa_exception_fp_ieee_div_zero 0
		.amdhsa_exception_fp_ieee_overflow 0
		.amdhsa_exception_fp_ieee_underflow 0
		.amdhsa_exception_fp_ieee_inexact 0
		.amdhsa_exception_int_div_zero 0
	.end_amdhsa_kernel
	.section	.text._ZN9rocsolver6v33100L11gemm_kernelI19rocblas_complex_numIdEiS3_PKPS3_S4_S6_EEvT0_S7_S7_T1_bT2_lS7_S7_lbT3_lS7_S7_lS8_T4_lS7_S7_l,"axG",@progbits,_ZN9rocsolver6v33100L11gemm_kernelI19rocblas_complex_numIdEiS3_PKPS3_S4_S6_EEvT0_S7_S7_T1_bT2_lS7_S7_lbT3_lS7_S7_lS8_T4_lS7_S7_l,comdat
.Lfunc_end16:
	.size	_ZN9rocsolver6v33100L11gemm_kernelI19rocblas_complex_numIdEiS3_PKPS3_S4_S6_EEvT0_S7_S7_T1_bT2_lS7_S7_lbT3_lS7_S7_lS8_T4_lS7_S7_l, .Lfunc_end16-_ZN9rocsolver6v33100L11gemm_kernelI19rocblas_complex_numIdEiS3_PKPS3_S4_S6_EEvT0_S7_S7_T1_bT2_lS7_S7_lbT3_lS7_S7_lS8_T4_lS7_S7_l
                                        ; -- End function
	.set _ZN9rocsolver6v33100L11gemm_kernelI19rocblas_complex_numIdEiS3_PKPS3_S4_S6_EEvT0_S7_S7_T1_bT2_lS7_S7_lbT3_lS7_S7_lS8_T4_lS7_S7_l.num_vgpr, 20
	.set _ZN9rocsolver6v33100L11gemm_kernelI19rocblas_complex_numIdEiS3_PKPS3_S4_S6_EEvT0_S7_S7_T1_bT2_lS7_S7_lbT3_lS7_S7_lS8_T4_lS7_S7_l.num_agpr, 0
	.set _ZN9rocsolver6v33100L11gemm_kernelI19rocblas_complex_numIdEiS3_PKPS3_S4_S6_EEvT0_S7_S7_T1_bT2_lS7_S7_lbT3_lS7_S7_lS8_T4_lS7_S7_l.numbered_sgpr, 29
	.set _ZN9rocsolver6v33100L11gemm_kernelI19rocblas_complex_numIdEiS3_PKPS3_S4_S6_EEvT0_S7_S7_T1_bT2_lS7_S7_lbT3_lS7_S7_lS8_T4_lS7_S7_l.num_named_barrier, 0
	.set _ZN9rocsolver6v33100L11gemm_kernelI19rocblas_complex_numIdEiS3_PKPS3_S4_S6_EEvT0_S7_S7_T1_bT2_lS7_S7_lbT3_lS7_S7_lS8_T4_lS7_S7_l.private_seg_size, 0
	.set _ZN9rocsolver6v33100L11gemm_kernelI19rocblas_complex_numIdEiS3_PKPS3_S4_S6_EEvT0_S7_S7_T1_bT2_lS7_S7_lbT3_lS7_S7_lS8_T4_lS7_S7_l.uses_vcc, 1
	.set _ZN9rocsolver6v33100L11gemm_kernelI19rocblas_complex_numIdEiS3_PKPS3_S4_S6_EEvT0_S7_S7_T1_bT2_lS7_S7_lbT3_lS7_S7_lS8_T4_lS7_S7_l.uses_flat_scratch, 0
	.set _ZN9rocsolver6v33100L11gemm_kernelI19rocblas_complex_numIdEiS3_PKPS3_S4_S6_EEvT0_S7_S7_T1_bT2_lS7_S7_lbT3_lS7_S7_lS8_T4_lS7_S7_l.has_dyn_sized_stack, 0
	.set _ZN9rocsolver6v33100L11gemm_kernelI19rocblas_complex_numIdEiS3_PKPS3_S4_S6_EEvT0_S7_S7_T1_bT2_lS7_S7_lbT3_lS7_S7_lS8_T4_lS7_S7_l.has_recursion, 0
	.set _ZN9rocsolver6v33100L11gemm_kernelI19rocblas_complex_numIdEiS3_PKPS3_S4_S6_EEvT0_S7_S7_T1_bT2_lS7_S7_lbT3_lS7_S7_lS8_T4_lS7_S7_l.has_indirect_call, 0
	.section	.AMDGPU.csdata,"",@progbits
; Kernel info:
; codeLenInByte = 748
; TotalNumSgprs: 31
; NumVgprs: 20
; ScratchSize: 0
; MemoryBound: 0
; FloatMode: 240
; IeeeMode: 1
; LDSByteSize: 0 bytes/workgroup (compile time only)
; SGPRBlocks: 0
; VGPRBlocks: 1
; NumSGPRsForWavesPerEU: 31
; NumVGPRsForWavesPerEU: 20
; NamedBarCnt: 0
; Occupancy: 16
; WaveLimiterHint : 1
; COMPUTE_PGM_RSRC2:SCRATCH_EN: 0
; COMPUTE_PGM_RSRC2:USER_SGPR: 2
; COMPUTE_PGM_RSRC2:TRAP_HANDLER: 0
; COMPUTE_PGM_RSRC2:TGID_X_EN: 1
; COMPUTE_PGM_RSRC2:TGID_Y_EN: 1
; COMPUTE_PGM_RSRC2:TGID_Z_EN: 1
; COMPUTE_PGM_RSRC2:TIDIG_COMP_CNT: 1
	.section	.text._ZN9rocsolver6v33100L16mfma_gemm_kernelI19rocblas_complex_numIdEiPKS3_PKPS3_S8_S6_EEv18rocblas_operation_S9_T0_SA_SA_T1_T2_lSA_SA_lT3_lSA_SA_lSB_T4_lSA_SA_l,"axG",@progbits,_ZN9rocsolver6v33100L16mfma_gemm_kernelI19rocblas_complex_numIdEiPKS3_PKPS3_S8_S6_EEv18rocblas_operation_S9_T0_SA_SA_T1_T2_lSA_SA_lT3_lSA_SA_lSB_T4_lSA_SA_l,comdat
	.globl	_ZN9rocsolver6v33100L16mfma_gemm_kernelI19rocblas_complex_numIdEiPKS3_PKPS3_S8_S6_EEv18rocblas_operation_S9_T0_SA_SA_T1_T2_lSA_SA_lT3_lSA_SA_lSB_T4_lSA_SA_l ; -- Begin function _ZN9rocsolver6v33100L16mfma_gemm_kernelI19rocblas_complex_numIdEiPKS3_PKPS3_S8_S6_EEv18rocblas_operation_S9_T0_SA_SA_T1_T2_lSA_SA_lT3_lSA_SA_lSB_T4_lSA_SA_l
	.p2align	8
	.type	_ZN9rocsolver6v33100L16mfma_gemm_kernelI19rocblas_complex_numIdEiPKS3_PKPS3_S8_S6_EEv18rocblas_operation_S9_T0_SA_SA_T1_T2_lSA_SA_lT3_lSA_SA_lSB_T4_lSA_SA_l,@function
_ZN9rocsolver6v33100L16mfma_gemm_kernelI19rocblas_complex_numIdEiPKS3_PKPS3_S8_S6_EEv18rocblas_operation_S9_T0_SA_SA_T1_T2_lSA_SA_lT3_lSA_SA_lSB_T4_lSA_SA_l: ; @_ZN9rocsolver6v33100L16mfma_gemm_kernelI19rocblas_complex_numIdEiPKS3_PKPS3_S8_S6_EEv18rocblas_operation_S9_T0_SA_SA_T1_T2_lSA_SA_lT3_lSA_SA_lSB_T4_lSA_SA_l
; %bb.0:
	s_endpgm
	.section	.rodata,"a",@progbits
	.p2align	6, 0x0
	.amdhsa_kernel _ZN9rocsolver6v33100L16mfma_gemm_kernelI19rocblas_complex_numIdEiPKS3_PKPS3_S8_S6_EEv18rocblas_operation_S9_T0_SA_SA_T1_T2_lSA_SA_lT3_lSA_SA_lSB_T4_lSA_SA_l
		.amdhsa_group_segment_fixed_size 0
		.amdhsa_private_segment_fixed_size 0
		.amdhsa_kernarg_size 136
		.amdhsa_user_sgpr_count 2
		.amdhsa_user_sgpr_dispatch_ptr 0
		.amdhsa_user_sgpr_queue_ptr 0
		.amdhsa_user_sgpr_kernarg_segment_ptr 1
		.amdhsa_user_sgpr_dispatch_id 0
		.amdhsa_user_sgpr_kernarg_preload_length 0
		.amdhsa_user_sgpr_kernarg_preload_offset 0
		.amdhsa_user_sgpr_private_segment_size 0
		.amdhsa_wavefront_size32 1
		.amdhsa_uses_dynamic_stack 0
		.amdhsa_enable_private_segment 0
		.amdhsa_system_sgpr_workgroup_id_x 1
		.amdhsa_system_sgpr_workgroup_id_y 0
		.amdhsa_system_sgpr_workgroup_id_z 0
		.amdhsa_system_sgpr_workgroup_info 0
		.amdhsa_system_vgpr_workitem_id 0
		.amdhsa_next_free_vgpr 1
		.amdhsa_next_free_sgpr 1
		.amdhsa_named_barrier_count 0
		.amdhsa_reserve_vcc 0
		.amdhsa_float_round_mode_32 0
		.amdhsa_float_round_mode_16_64 0
		.amdhsa_float_denorm_mode_32 3
		.amdhsa_float_denorm_mode_16_64 3
		.amdhsa_fp16_overflow 0
		.amdhsa_memory_ordered 1
		.amdhsa_forward_progress 1
		.amdhsa_inst_pref_size 1
		.amdhsa_round_robin_scheduling 0
		.amdhsa_exception_fp_ieee_invalid_op 0
		.amdhsa_exception_fp_denorm_src 0
		.amdhsa_exception_fp_ieee_div_zero 0
		.amdhsa_exception_fp_ieee_overflow 0
		.amdhsa_exception_fp_ieee_underflow 0
		.amdhsa_exception_fp_ieee_inexact 0
		.amdhsa_exception_int_div_zero 0
	.end_amdhsa_kernel
	.section	.text._ZN9rocsolver6v33100L16mfma_gemm_kernelI19rocblas_complex_numIdEiPKS3_PKPS3_S8_S6_EEv18rocblas_operation_S9_T0_SA_SA_T1_T2_lSA_SA_lT3_lSA_SA_lSB_T4_lSA_SA_l,"axG",@progbits,_ZN9rocsolver6v33100L16mfma_gemm_kernelI19rocblas_complex_numIdEiPKS3_PKPS3_S8_S6_EEv18rocblas_operation_S9_T0_SA_SA_T1_T2_lSA_SA_lT3_lSA_SA_lSB_T4_lSA_SA_l,comdat
.Lfunc_end17:
	.size	_ZN9rocsolver6v33100L16mfma_gemm_kernelI19rocblas_complex_numIdEiPKS3_PKPS3_S8_S6_EEv18rocblas_operation_S9_T0_SA_SA_T1_T2_lSA_SA_lT3_lSA_SA_lSB_T4_lSA_SA_l, .Lfunc_end17-_ZN9rocsolver6v33100L16mfma_gemm_kernelI19rocblas_complex_numIdEiPKS3_PKPS3_S8_S6_EEv18rocblas_operation_S9_T0_SA_SA_T1_T2_lSA_SA_lT3_lSA_SA_lSB_T4_lSA_SA_l
                                        ; -- End function
	.set _ZN9rocsolver6v33100L16mfma_gemm_kernelI19rocblas_complex_numIdEiPKS3_PKPS3_S8_S6_EEv18rocblas_operation_S9_T0_SA_SA_T1_T2_lSA_SA_lT3_lSA_SA_lSB_T4_lSA_SA_l.num_vgpr, 0
	.set _ZN9rocsolver6v33100L16mfma_gemm_kernelI19rocblas_complex_numIdEiPKS3_PKPS3_S8_S6_EEv18rocblas_operation_S9_T0_SA_SA_T1_T2_lSA_SA_lT3_lSA_SA_lSB_T4_lSA_SA_l.num_agpr, 0
	.set _ZN9rocsolver6v33100L16mfma_gemm_kernelI19rocblas_complex_numIdEiPKS3_PKPS3_S8_S6_EEv18rocblas_operation_S9_T0_SA_SA_T1_T2_lSA_SA_lT3_lSA_SA_lSB_T4_lSA_SA_l.numbered_sgpr, 0
	.set _ZN9rocsolver6v33100L16mfma_gemm_kernelI19rocblas_complex_numIdEiPKS3_PKPS3_S8_S6_EEv18rocblas_operation_S9_T0_SA_SA_T1_T2_lSA_SA_lT3_lSA_SA_lSB_T4_lSA_SA_l.num_named_barrier, 0
	.set _ZN9rocsolver6v33100L16mfma_gemm_kernelI19rocblas_complex_numIdEiPKS3_PKPS3_S8_S6_EEv18rocblas_operation_S9_T0_SA_SA_T1_T2_lSA_SA_lT3_lSA_SA_lSB_T4_lSA_SA_l.private_seg_size, 0
	.set _ZN9rocsolver6v33100L16mfma_gemm_kernelI19rocblas_complex_numIdEiPKS3_PKPS3_S8_S6_EEv18rocblas_operation_S9_T0_SA_SA_T1_T2_lSA_SA_lT3_lSA_SA_lSB_T4_lSA_SA_l.uses_vcc, 0
	.set _ZN9rocsolver6v33100L16mfma_gemm_kernelI19rocblas_complex_numIdEiPKS3_PKPS3_S8_S6_EEv18rocblas_operation_S9_T0_SA_SA_T1_T2_lSA_SA_lT3_lSA_SA_lSB_T4_lSA_SA_l.uses_flat_scratch, 0
	.set _ZN9rocsolver6v33100L16mfma_gemm_kernelI19rocblas_complex_numIdEiPKS3_PKPS3_S8_S6_EEv18rocblas_operation_S9_T0_SA_SA_T1_T2_lSA_SA_lT3_lSA_SA_lSB_T4_lSA_SA_l.has_dyn_sized_stack, 0
	.set _ZN9rocsolver6v33100L16mfma_gemm_kernelI19rocblas_complex_numIdEiPKS3_PKPS3_S8_S6_EEv18rocblas_operation_S9_T0_SA_SA_T1_T2_lSA_SA_lT3_lSA_SA_lSB_T4_lSA_SA_l.has_recursion, 0
	.set _ZN9rocsolver6v33100L16mfma_gemm_kernelI19rocblas_complex_numIdEiPKS3_PKPS3_S8_S6_EEv18rocblas_operation_S9_T0_SA_SA_T1_T2_lSA_SA_lT3_lSA_SA_lSB_T4_lSA_SA_l.has_indirect_call, 0
	.section	.AMDGPU.csdata,"",@progbits
; Kernel info:
; codeLenInByte = 4
; TotalNumSgprs: 0
; NumVgprs: 0
; ScratchSize: 0
; MemoryBound: 0
; FloatMode: 240
; IeeeMode: 1
; LDSByteSize: 0 bytes/workgroup (compile time only)
; SGPRBlocks: 0
; VGPRBlocks: 0
; NumSGPRsForWavesPerEU: 1
; NumVGPRsForWavesPerEU: 1
; NamedBarCnt: 0
; Occupancy: 16
; WaveLimiterHint : 0
; COMPUTE_PGM_RSRC2:SCRATCH_EN: 0
; COMPUTE_PGM_RSRC2:USER_SGPR: 2
; COMPUTE_PGM_RSRC2:TRAP_HANDLER: 0
; COMPUTE_PGM_RSRC2:TGID_X_EN: 1
; COMPUTE_PGM_RSRC2:TGID_Y_EN: 0
; COMPUTE_PGM_RSRC2:TGID_Z_EN: 0
; COMPUTE_PGM_RSRC2:TIDIG_COMP_CNT: 0
	.section	.text._ZN9rocsolver6v33100L16mfma_gemm_kernelI19rocblas_complex_numIdEiS3_PKPS3_S6_S4_EEv18rocblas_operation_S7_T0_S8_S8_T1_T2_lS8_S8_lT3_lS8_S8_lS9_T4_lS8_S8_l,"axG",@progbits,_ZN9rocsolver6v33100L16mfma_gemm_kernelI19rocblas_complex_numIdEiS3_PKPS3_S6_S4_EEv18rocblas_operation_S7_T0_S8_S8_T1_T2_lS8_S8_lT3_lS8_S8_lS9_T4_lS8_S8_l,comdat
	.globl	_ZN9rocsolver6v33100L16mfma_gemm_kernelI19rocblas_complex_numIdEiS3_PKPS3_S6_S4_EEv18rocblas_operation_S7_T0_S8_S8_T1_T2_lS8_S8_lT3_lS8_S8_lS9_T4_lS8_S8_l ; -- Begin function _ZN9rocsolver6v33100L16mfma_gemm_kernelI19rocblas_complex_numIdEiS3_PKPS3_S6_S4_EEv18rocblas_operation_S7_T0_S8_S8_T1_T2_lS8_S8_lT3_lS8_S8_lS9_T4_lS8_S8_l
	.p2align	8
	.type	_ZN9rocsolver6v33100L16mfma_gemm_kernelI19rocblas_complex_numIdEiS3_PKPS3_S6_S4_EEv18rocblas_operation_S7_T0_S8_S8_T1_T2_lS8_S8_lT3_lS8_S8_lS9_T4_lS8_S8_l,@function
_ZN9rocsolver6v33100L16mfma_gemm_kernelI19rocblas_complex_numIdEiS3_PKPS3_S6_S4_EEv18rocblas_operation_S7_T0_S8_S8_T1_T2_lS8_S8_lT3_lS8_S8_lS9_T4_lS8_S8_l: ; @_ZN9rocsolver6v33100L16mfma_gemm_kernelI19rocblas_complex_numIdEiS3_PKPS3_S6_S4_EEv18rocblas_operation_S7_T0_S8_S8_T1_T2_lS8_S8_lT3_lS8_S8_lS9_T4_lS8_S8_l
; %bb.0:
	s_endpgm
	.section	.rodata,"a",@progbits
	.p2align	6, 0x0
	.amdhsa_kernel _ZN9rocsolver6v33100L16mfma_gemm_kernelI19rocblas_complex_numIdEiS3_PKPS3_S6_S4_EEv18rocblas_operation_S7_T0_S8_S8_T1_T2_lS8_S8_lT3_lS8_S8_lS9_T4_lS8_S8_l
		.amdhsa_group_segment_fixed_size 0
		.amdhsa_private_segment_fixed_size 0
		.amdhsa_kernarg_size 152
		.amdhsa_user_sgpr_count 2
		.amdhsa_user_sgpr_dispatch_ptr 0
		.amdhsa_user_sgpr_queue_ptr 0
		.amdhsa_user_sgpr_kernarg_segment_ptr 1
		.amdhsa_user_sgpr_dispatch_id 0
		.amdhsa_user_sgpr_kernarg_preload_length 0
		.amdhsa_user_sgpr_kernarg_preload_offset 0
		.amdhsa_user_sgpr_private_segment_size 0
		.amdhsa_wavefront_size32 1
		.amdhsa_uses_dynamic_stack 0
		.amdhsa_enable_private_segment 0
		.amdhsa_system_sgpr_workgroup_id_x 1
		.amdhsa_system_sgpr_workgroup_id_y 0
		.amdhsa_system_sgpr_workgroup_id_z 0
		.amdhsa_system_sgpr_workgroup_info 0
		.amdhsa_system_vgpr_workitem_id 0
		.amdhsa_next_free_vgpr 1
		.amdhsa_next_free_sgpr 1
		.amdhsa_named_barrier_count 0
		.amdhsa_reserve_vcc 0
		.amdhsa_float_round_mode_32 0
		.amdhsa_float_round_mode_16_64 0
		.amdhsa_float_denorm_mode_32 3
		.amdhsa_float_denorm_mode_16_64 3
		.amdhsa_fp16_overflow 0
		.amdhsa_memory_ordered 1
		.amdhsa_forward_progress 1
		.amdhsa_inst_pref_size 1
		.amdhsa_round_robin_scheduling 0
		.amdhsa_exception_fp_ieee_invalid_op 0
		.amdhsa_exception_fp_denorm_src 0
		.amdhsa_exception_fp_ieee_div_zero 0
		.amdhsa_exception_fp_ieee_overflow 0
		.amdhsa_exception_fp_ieee_underflow 0
		.amdhsa_exception_fp_ieee_inexact 0
		.amdhsa_exception_int_div_zero 0
	.end_amdhsa_kernel
	.section	.text._ZN9rocsolver6v33100L16mfma_gemm_kernelI19rocblas_complex_numIdEiS3_PKPS3_S6_S4_EEv18rocblas_operation_S7_T0_S8_S8_T1_T2_lS8_S8_lT3_lS8_S8_lS9_T4_lS8_S8_l,"axG",@progbits,_ZN9rocsolver6v33100L16mfma_gemm_kernelI19rocblas_complex_numIdEiS3_PKPS3_S6_S4_EEv18rocblas_operation_S7_T0_S8_S8_T1_T2_lS8_S8_lT3_lS8_S8_lS9_T4_lS8_S8_l,comdat
.Lfunc_end18:
	.size	_ZN9rocsolver6v33100L16mfma_gemm_kernelI19rocblas_complex_numIdEiS3_PKPS3_S6_S4_EEv18rocblas_operation_S7_T0_S8_S8_T1_T2_lS8_S8_lT3_lS8_S8_lS9_T4_lS8_S8_l, .Lfunc_end18-_ZN9rocsolver6v33100L16mfma_gemm_kernelI19rocblas_complex_numIdEiS3_PKPS3_S6_S4_EEv18rocblas_operation_S7_T0_S8_S8_T1_T2_lS8_S8_lT3_lS8_S8_lS9_T4_lS8_S8_l
                                        ; -- End function
	.set _ZN9rocsolver6v33100L16mfma_gemm_kernelI19rocblas_complex_numIdEiS3_PKPS3_S6_S4_EEv18rocblas_operation_S7_T0_S8_S8_T1_T2_lS8_S8_lT3_lS8_S8_lS9_T4_lS8_S8_l.num_vgpr, 0
	.set _ZN9rocsolver6v33100L16mfma_gemm_kernelI19rocblas_complex_numIdEiS3_PKPS3_S6_S4_EEv18rocblas_operation_S7_T0_S8_S8_T1_T2_lS8_S8_lT3_lS8_S8_lS9_T4_lS8_S8_l.num_agpr, 0
	.set _ZN9rocsolver6v33100L16mfma_gemm_kernelI19rocblas_complex_numIdEiS3_PKPS3_S6_S4_EEv18rocblas_operation_S7_T0_S8_S8_T1_T2_lS8_S8_lT3_lS8_S8_lS9_T4_lS8_S8_l.numbered_sgpr, 0
	.set _ZN9rocsolver6v33100L16mfma_gemm_kernelI19rocblas_complex_numIdEiS3_PKPS3_S6_S4_EEv18rocblas_operation_S7_T0_S8_S8_T1_T2_lS8_S8_lT3_lS8_S8_lS9_T4_lS8_S8_l.num_named_barrier, 0
	.set _ZN9rocsolver6v33100L16mfma_gemm_kernelI19rocblas_complex_numIdEiS3_PKPS3_S6_S4_EEv18rocblas_operation_S7_T0_S8_S8_T1_T2_lS8_S8_lT3_lS8_S8_lS9_T4_lS8_S8_l.private_seg_size, 0
	.set _ZN9rocsolver6v33100L16mfma_gemm_kernelI19rocblas_complex_numIdEiS3_PKPS3_S6_S4_EEv18rocblas_operation_S7_T0_S8_S8_T1_T2_lS8_S8_lT3_lS8_S8_lS9_T4_lS8_S8_l.uses_vcc, 0
	.set _ZN9rocsolver6v33100L16mfma_gemm_kernelI19rocblas_complex_numIdEiS3_PKPS3_S6_S4_EEv18rocblas_operation_S7_T0_S8_S8_T1_T2_lS8_S8_lT3_lS8_S8_lS9_T4_lS8_S8_l.uses_flat_scratch, 0
	.set _ZN9rocsolver6v33100L16mfma_gemm_kernelI19rocblas_complex_numIdEiS3_PKPS3_S6_S4_EEv18rocblas_operation_S7_T0_S8_S8_T1_T2_lS8_S8_lT3_lS8_S8_lS9_T4_lS8_S8_l.has_dyn_sized_stack, 0
	.set _ZN9rocsolver6v33100L16mfma_gemm_kernelI19rocblas_complex_numIdEiS3_PKPS3_S6_S4_EEv18rocblas_operation_S7_T0_S8_S8_T1_T2_lS8_S8_lT3_lS8_S8_lS9_T4_lS8_S8_l.has_recursion, 0
	.set _ZN9rocsolver6v33100L16mfma_gemm_kernelI19rocblas_complex_numIdEiS3_PKPS3_S6_S4_EEv18rocblas_operation_S7_T0_S8_S8_T1_T2_lS8_S8_lT3_lS8_S8_lS9_T4_lS8_S8_l.has_indirect_call, 0
	.section	.AMDGPU.csdata,"",@progbits
; Kernel info:
; codeLenInByte = 4
; TotalNumSgprs: 0
; NumVgprs: 0
; ScratchSize: 0
; MemoryBound: 0
; FloatMode: 240
; IeeeMode: 1
; LDSByteSize: 0 bytes/workgroup (compile time only)
; SGPRBlocks: 0
; VGPRBlocks: 0
; NumSGPRsForWavesPerEU: 1
; NumVGPRsForWavesPerEU: 1
; NamedBarCnt: 0
; Occupancy: 16
; WaveLimiterHint : 0
; COMPUTE_PGM_RSRC2:SCRATCH_EN: 0
; COMPUTE_PGM_RSRC2:USER_SGPR: 2
; COMPUTE_PGM_RSRC2:TRAP_HANDLER: 0
; COMPUTE_PGM_RSRC2:TGID_X_EN: 1
; COMPUTE_PGM_RSRC2:TGID_Y_EN: 0
; COMPUTE_PGM_RSRC2:TGID_Z_EN: 0
; COMPUTE_PGM_RSRC2:TIDIG_COMP_CNT: 0
	.section	.text._ZN9rocsolver6v33100L11gemm_kernelI19rocblas_complex_numIdEiPKS3_PKPS3_S8_S6_EEvT0_S9_S9_T1_bT2_lS9_S9_lbT3_lS9_S9_lSA_T4_lS9_S9_l,"axG",@progbits,_ZN9rocsolver6v33100L11gemm_kernelI19rocblas_complex_numIdEiPKS3_PKPS3_S8_S6_EEvT0_S9_S9_T1_bT2_lS9_S9_lbT3_lS9_S9_lSA_T4_lS9_S9_l,comdat
	.globl	_ZN9rocsolver6v33100L11gemm_kernelI19rocblas_complex_numIdEiPKS3_PKPS3_S8_S6_EEvT0_S9_S9_T1_bT2_lS9_S9_lbT3_lS9_S9_lSA_T4_lS9_S9_l ; -- Begin function _ZN9rocsolver6v33100L11gemm_kernelI19rocblas_complex_numIdEiPKS3_PKPS3_S8_S6_EEvT0_S9_S9_T1_bT2_lS9_S9_lbT3_lS9_S9_lSA_T4_lS9_S9_l
	.p2align	8
	.type	_ZN9rocsolver6v33100L11gemm_kernelI19rocblas_complex_numIdEiPKS3_PKPS3_S8_S6_EEvT0_S9_S9_T1_bT2_lS9_S9_lbT3_lS9_S9_lSA_T4_lS9_S9_l,@function
_ZN9rocsolver6v33100L11gemm_kernelI19rocblas_complex_numIdEiPKS3_PKPS3_S8_S6_EEvT0_S9_S9_T1_bT2_lS9_S9_lbT3_lS9_S9_lSA_T4_lS9_S9_l: ; @_ZN9rocsolver6v33100L11gemm_kernelI19rocblas_complex_numIdEiPKS3_PKPS3_S8_S6_EEvT0_S9_S9_T1_bT2_lS9_S9_lbT3_lS9_S9_lSA_T4_lS9_S9_l
; %bb.0:
	s_clause 0x1
	s_load_b32 s2, s[0:1], 0x9c
	s_load_b96 s[8:10], s[0:1], 0x0
	s_bfe_u32 s5, ttmp6, 0x40010
	s_bfe_u32 s11, ttmp6, 0x4000c
	s_and_b32 s4, ttmp7, 0xffff
	s_add_co_i32 s5, s5, 1
	s_add_co_i32 s11, s11, 1
	s_bfe_u32 s6, ttmp6, 0x40004
	s_and_b32 s7, ttmp6, 15
	s_mul_i32 s5, s4, s5
	s_mul_i32 s11, ttmp9, s11
	s_getreg_b32 s3, hwreg(HW_REG_IB_STS2, 6, 4)
	v_and_b32_e32 v1, 0x3ff, v0
	v_bfe_u32 v0, v0, 10, 10
	s_add_co_i32 s6, s6, s5
	s_add_co_i32 s7, s7, s11
	s_mov_b32 s17, 0
	s_wait_kmcnt 0x0
	s_lshr_b32 s5, s2, 16
	s_and_b32 s2, s2, 0xffff
	s_cmp_eq_u32 s3, 0
	s_cselect_b32 s7, ttmp9, s7
	s_cselect_b32 s4, s4, s6
	v_mad_u32 v8, s7, s2, v1
	v_mad_u32 v9, s4, s5, v0
	s_delay_alu instid0(VALU_DEP_2) | instskip(NEXT) | instid1(VALU_DEP_2)
	v_cmp_gt_i32_e32 vcc_lo, s8, v8
	v_cmp_gt_i32_e64 s2, s9, v9
	s_and_b32 s2, vcc_lo, s2
	s_delay_alu instid0(SALU_CYCLE_1)
	s_and_saveexec_b32 s4, s2
	s_cbranch_execz .LBB19_6
; %bb.1:
	s_clause 0x2
	s_load_b64 s[18:19], s[0:1], 0x78
	s_load_b64 s[20:21], s[0:1], 0x10
	s_load_b128 s[4:7], s[0:1], 0x68
	s_bfe_u32 s2, ttmp6, 0x40014
	s_lshr_b32 s8, ttmp7, 16
	s_add_co_i32 s2, s2, 1
	s_bfe_u32 s9, ttmp6, 0x40008
	s_mul_i32 s2, s8, s2
	s_delay_alu instid0(SALU_CYCLE_1)
	s_add_co_i32 s9, s9, s2
	s_cmp_eq_u32 s3, 0
	s_cselect_b32 s16, s8, s9
	s_cmp_lt_i32 s10, 1
	s_cbranch_scc1 .LBB19_4
; %bb.2:
	s_clause 0x5
	s_load_b128 s[12:15], s[0:1], 0x20
	s_load_b128 s[24:27], s[0:1], 0x48
	s_load_b64 s[2:3], s[0:1], 0x30
	s_load_b64 s[22:23], s[0:1], 0x58
	s_load_b32 s11, s[0:1], 0x18
	s_load_b32 s30, s[0:1], 0x40
	s_wait_kmcnt 0x0
	s_load_b64 s[8:9], s[12:13], s16 offset:0x0 scale_offset
	s_load_b64 s[28:29], s[24:25], s16 offset:0x0 scale_offset
	v_mul_lo_u32 v0, v8, s2
	v_mul_lo_u32 v2, v9, s23
	s_bitcmp1_b32 s11, 0
	s_cselect_b32 vcc_lo, -1, 0
	s_bitcmp1_b32 s30, 0
	s_cselect_b32 s2, -1, 0
	s_wait_xcnt 0x0
	s_lshl_b64 s[12:13], s[14:15], 4
	s_lshl_b64 s[14:15], s[26:27], 4
	s_ashr_i32 s23, s22, 31
	s_delay_alu instid0(VALU_DEP_1) | instskip(SKIP_3) | instid1(VALU_DEP_1)
	v_dual_ashrrev_i32 v1, 31, v0 :: v_dual_ashrrev_i32 v3, 31, v2
	s_wait_kmcnt 0x0
	s_add_nc_u64 s[8:9], s[8:9], s[12:13]
	s_add_nc_u64 s[12:13], s[28:29], s[14:15]
	v_lshl_add_u64 v[4:5], v[0:1], 4, s[8:9]
	v_lshl_add_u64 v[2:3], v[2:3], 4, s[12:13]
	v_mov_b64_e32 v[0:1], 0
	s_ashr_i32 s9, s3, 31
	s_mov_b32 s8, s3
	v_add_nc_u64_e32 v[4:5], 8, v[4:5]
	v_add_nc_u64_e32 v[6:7], 8, v[2:3]
	v_mov_b64_e32 v[2:3], 0
	s_lshl_b64 s[8:9], s[8:9], 4
	s_lshl_b64 s[12:13], s[22:23], 4
.LBB19_3:                               ; =>This Inner Loop Header: Depth=1
	flat_load_b128 v[10:13], v[4:5] offset:-8
	flat_load_b128 v[14:17], v[6:7] offset:-8
	s_wait_xcnt 0x1
	v_add_nc_u64_e32 v[4:5], s[8:9], v[4:5]
	s_wait_xcnt 0x0
	v_add_nc_u64_e32 v[6:7], s[12:13], v[6:7]
	s_add_co_i32 s10, s10, -1
	s_delay_alu instid0(SALU_CYCLE_1) | instskip(SKIP_4) | instid1(VALU_DEP_2)
	s_cmp_eq_u32 s10, 0
	s_wait_loadcnt_dscnt 0x101
	v_xor_b32_e32 v18, 0x80000000, v13
	s_wait_loadcnt_dscnt 0x0
	v_xor_b32_e32 v19, 0x80000000, v17
	v_cndmask_b32_e32 v13, v13, v18, vcc_lo
	s_delay_alu instid0(VALU_DEP_2) | instskip(NEXT) | instid1(VALU_DEP_1)
	v_cndmask_b32_e64 v17, v17, v19, s2
	v_mul_f64_e32 v[18:19], v[12:13], v[16:17]
	v_mul_f64_e32 v[12:13], v[12:13], v[14:15]
	s_delay_alu instid0(VALU_DEP_2) | instskip(NEXT) | instid1(VALU_DEP_2)
	v_fma_f64 v[14:15], v[10:11], v[14:15], -v[18:19]
	v_fmac_f64_e32 v[12:13], v[10:11], v[16:17]
	s_delay_alu instid0(VALU_DEP_2) | instskip(NEXT) | instid1(VALU_DEP_2)
	v_add_f64_e32 v[2:3], v[2:3], v[14:15]
	v_add_f64_e32 v[0:1], v[0:1], v[12:13]
	s_cbranch_scc0 .LBB19_3
	s_branch .LBB19_5
.LBB19_4:
	v_mov_b64_e32 v[0:1], 0
	v_mov_b64_e32 v[2:3], 0
.LBB19_5:
	s_wait_kmcnt 0x0
	s_load_b128 s[12:15], s[20:21], 0x0
	s_load_b128 s[8:11], s[4:5], 0x0
                                        ; kill: killed $sgpr4_sgpr5
                                        ; kill: killed $sgpr20_sgpr21
	s_nop 0
	s_load_b128 s[0:3], s[0:1], 0x80
	s_wait_kmcnt 0x0
	s_delay_alu instid0(VALU_DEP_1) | instskip(SKIP_1) | instid1(VALU_DEP_1)
	v_mul_f64_e32 v[10:11], s[12:13], v[0:1]
	v_mul_lo_u32 v4, v8, s0
	v_mad_u32 v12, v9, s1, v4
	s_mul_u64 s[0:1], s[2:3], s[16:17]
	s_lshl_b64 s[2:3], s[18:19], 4
	s_lshl_b64 s[0:1], s[0:1], 4
	v_mul_f64_e32 v[8:9], s[14:15], v[0:1]
	s_add_nc_u64 s[0:1], s[6:7], s[0:1]
	s_delay_alu instid0(SALU_CYCLE_1)
	s_add_nc_u64 s[0:1], s[0:1], s[2:3]
	global_load_b128 v[4:7], v12, s[0:1] scale_offset
	v_fmac_f64_e32 v[10:11], s[14:15], v[2:3]
	v_fma_f64 v[8:9], s[12:13], v[2:3], -v[8:9]
	s_wait_loadcnt 0x0
	v_mul_f64_e32 v[0:1], s[10:11], v[6:7]
	v_mul_f64_e32 v[6:7], s[8:9], v[6:7]
	s_delay_alu instid0(VALU_DEP_2) | instskip(NEXT) | instid1(VALU_DEP_2)
	v_fma_f64 v[0:1], s[8:9], v[4:5], -v[0:1]
	v_fmac_f64_e32 v[6:7], s[10:11], v[4:5]
	s_delay_alu instid0(VALU_DEP_2) | instskip(NEXT) | instid1(VALU_DEP_2)
	v_add_f64_e32 v[0:1], v[8:9], v[0:1]
	v_add_f64_e32 v[2:3], v[10:11], v[6:7]
	global_store_b128 v12, v[0:3], s[0:1] scale_offset
.LBB19_6:
	s_endpgm
	.section	.rodata,"a",@progbits
	.p2align	6, 0x0
	.amdhsa_kernel _ZN9rocsolver6v33100L11gemm_kernelI19rocblas_complex_numIdEiPKS3_PKPS3_S8_S6_EEvT0_S9_S9_T1_bT2_lS9_S9_lbT3_lS9_S9_lSA_T4_lS9_S9_l
		.amdhsa_group_segment_fixed_size 0
		.amdhsa_private_segment_fixed_size 0
		.amdhsa_kernarg_size 400
		.amdhsa_user_sgpr_count 2
		.amdhsa_user_sgpr_dispatch_ptr 0
		.amdhsa_user_sgpr_queue_ptr 0
		.amdhsa_user_sgpr_kernarg_segment_ptr 1
		.amdhsa_user_sgpr_dispatch_id 0
		.amdhsa_user_sgpr_kernarg_preload_length 0
		.amdhsa_user_sgpr_kernarg_preload_offset 0
		.amdhsa_user_sgpr_private_segment_size 0
		.amdhsa_wavefront_size32 1
		.amdhsa_uses_dynamic_stack 0
		.amdhsa_enable_private_segment 0
		.amdhsa_system_sgpr_workgroup_id_x 1
		.amdhsa_system_sgpr_workgroup_id_y 1
		.amdhsa_system_sgpr_workgroup_id_z 1
		.amdhsa_system_sgpr_workgroup_info 0
		.amdhsa_system_vgpr_workitem_id 1
		.amdhsa_next_free_vgpr 20
		.amdhsa_next_free_sgpr 31
		.amdhsa_named_barrier_count 0
		.amdhsa_reserve_vcc 1
		.amdhsa_float_round_mode_32 0
		.amdhsa_float_round_mode_16_64 0
		.amdhsa_float_denorm_mode_32 3
		.amdhsa_float_denorm_mode_16_64 3
		.amdhsa_fp16_overflow 0
		.amdhsa_memory_ordered 1
		.amdhsa_forward_progress 1
		.amdhsa_inst_pref_size 6
		.amdhsa_round_robin_scheduling 0
		.amdhsa_exception_fp_ieee_invalid_op 0
		.amdhsa_exception_fp_denorm_src 0
		.amdhsa_exception_fp_ieee_div_zero 0
		.amdhsa_exception_fp_ieee_overflow 0
		.amdhsa_exception_fp_ieee_underflow 0
		.amdhsa_exception_fp_ieee_inexact 0
		.amdhsa_exception_int_div_zero 0
	.end_amdhsa_kernel
	.section	.text._ZN9rocsolver6v33100L11gemm_kernelI19rocblas_complex_numIdEiPKS3_PKPS3_S8_S6_EEvT0_S9_S9_T1_bT2_lS9_S9_lbT3_lS9_S9_lSA_T4_lS9_S9_l,"axG",@progbits,_ZN9rocsolver6v33100L11gemm_kernelI19rocblas_complex_numIdEiPKS3_PKPS3_S8_S6_EEvT0_S9_S9_T1_bT2_lS9_S9_lbT3_lS9_S9_lSA_T4_lS9_S9_l,comdat
.Lfunc_end19:
	.size	_ZN9rocsolver6v33100L11gemm_kernelI19rocblas_complex_numIdEiPKS3_PKPS3_S8_S6_EEvT0_S9_S9_T1_bT2_lS9_S9_lbT3_lS9_S9_lSA_T4_lS9_S9_l, .Lfunc_end19-_ZN9rocsolver6v33100L11gemm_kernelI19rocblas_complex_numIdEiPKS3_PKPS3_S8_S6_EEvT0_S9_S9_T1_bT2_lS9_S9_lbT3_lS9_S9_lSA_T4_lS9_S9_l
                                        ; -- End function
	.set _ZN9rocsolver6v33100L11gemm_kernelI19rocblas_complex_numIdEiPKS3_PKPS3_S8_S6_EEvT0_S9_S9_T1_bT2_lS9_S9_lbT3_lS9_S9_lSA_T4_lS9_S9_l.num_vgpr, 20
	.set _ZN9rocsolver6v33100L11gemm_kernelI19rocblas_complex_numIdEiPKS3_PKPS3_S8_S6_EEvT0_S9_S9_T1_bT2_lS9_S9_lbT3_lS9_S9_lSA_T4_lS9_S9_l.num_agpr, 0
	.set _ZN9rocsolver6v33100L11gemm_kernelI19rocblas_complex_numIdEiPKS3_PKPS3_S8_S6_EEvT0_S9_S9_T1_bT2_lS9_S9_lbT3_lS9_S9_lSA_T4_lS9_S9_l.numbered_sgpr, 31
	.set _ZN9rocsolver6v33100L11gemm_kernelI19rocblas_complex_numIdEiPKS3_PKPS3_S8_S6_EEvT0_S9_S9_T1_bT2_lS9_S9_lbT3_lS9_S9_lSA_T4_lS9_S9_l.num_named_barrier, 0
	.set _ZN9rocsolver6v33100L11gemm_kernelI19rocblas_complex_numIdEiPKS3_PKPS3_S8_S6_EEvT0_S9_S9_T1_bT2_lS9_S9_lbT3_lS9_S9_lSA_T4_lS9_S9_l.private_seg_size, 0
	.set _ZN9rocsolver6v33100L11gemm_kernelI19rocblas_complex_numIdEiPKS3_PKPS3_S8_S6_EEvT0_S9_S9_T1_bT2_lS9_S9_lbT3_lS9_S9_lSA_T4_lS9_S9_l.uses_vcc, 1
	.set _ZN9rocsolver6v33100L11gemm_kernelI19rocblas_complex_numIdEiPKS3_PKPS3_S8_S6_EEvT0_S9_S9_T1_bT2_lS9_S9_lbT3_lS9_S9_lSA_T4_lS9_S9_l.uses_flat_scratch, 0
	.set _ZN9rocsolver6v33100L11gemm_kernelI19rocblas_complex_numIdEiPKS3_PKPS3_S8_S6_EEvT0_S9_S9_T1_bT2_lS9_S9_lbT3_lS9_S9_lSA_T4_lS9_S9_l.has_dyn_sized_stack, 0
	.set _ZN9rocsolver6v33100L11gemm_kernelI19rocblas_complex_numIdEiPKS3_PKPS3_S8_S6_EEvT0_S9_S9_T1_bT2_lS9_S9_lbT3_lS9_S9_lSA_T4_lS9_S9_l.has_recursion, 0
	.set _ZN9rocsolver6v33100L11gemm_kernelI19rocblas_complex_numIdEiPKS3_PKPS3_S8_S6_EEvT0_S9_S9_T1_bT2_lS9_S9_lbT3_lS9_S9_lSA_T4_lS9_S9_l.has_indirect_call, 0
	.section	.AMDGPU.csdata,"",@progbits
; Kernel info:
; codeLenInByte = 768
; TotalNumSgprs: 33
; NumVgprs: 20
; ScratchSize: 0
; MemoryBound: 0
; FloatMode: 240
; IeeeMode: 1
; LDSByteSize: 0 bytes/workgroup (compile time only)
; SGPRBlocks: 0
; VGPRBlocks: 1
; NumSGPRsForWavesPerEU: 33
; NumVGPRsForWavesPerEU: 20
; NamedBarCnt: 0
; Occupancy: 16
; WaveLimiterHint : 1
; COMPUTE_PGM_RSRC2:SCRATCH_EN: 0
; COMPUTE_PGM_RSRC2:USER_SGPR: 2
; COMPUTE_PGM_RSRC2:TRAP_HANDLER: 0
; COMPUTE_PGM_RSRC2:TGID_X_EN: 1
; COMPUTE_PGM_RSRC2:TGID_Y_EN: 1
; COMPUTE_PGM_RSRC2:TGID_Z_EN: 1
; COMPUTE_PGM_RSRC2:TIDIG_COMP_CNT: 1
	.section	.text._ZN9rocsolver6v33100L11gemm_kernelI19rocblas_complex_numIdEiS3_PKPS3_S6_S4_EEvT0_S7_S7_T1_bT2_lS7_S7_lbT3_lS7_S7_lS8_T4_lS7_S7_l,"axG",@progbits,_ZN9rocsolver6v33100L11gemm_kernelI19rocblas_complex_numIdEiS3_PKPS3_S6_S4_EEvT0_S7_S7_T1_bT2_lS7_S7_lbT3_lS7_S7_lS8_T4_lS7_S7_l,comdat
	.globl	_ZN9rocsolver6v33100L11gemm_kernelI19rocblas_complex_numIdEiS3_PKPS3_S6_S4_EEvT0_S7_S7_T1_bT2_lS7_S7_lbT3_lS7_S7_lS8_T4_lS7_S7_l ; -- Begin function _ZN9rocsolver6v33100L11gemm_kernelI19rocblas_complex_numIdEiS3_PKPS3_S6_S4_EEvT0_S7_S7_T1_bT2_lS7_S7_lbT3_lS7_S7_lS8_T4_lS7_S7_l
	.p2align	8
	.type	_ZN9rocsolver6v33100L11gemm_kernelI19rocblas_complex_numIdEiS3_PKPS3_S6_S4_EEvT0_S7_S7_T1_bT2_lS7_S7_lbT3_lS7_S7_lS8_T4_lS7_S7_l,@function
_ZN9rocsolver6v33100L11gemm_kernelI19rocblas_complex_numIdEiS3_PKPS3_S6_S4_EEvT0_S7_S7_T1_bT2_lS7_S7_lbT3_lS7_S7_lS8_T4_lS7_S7_l: ; @_ZN9rocsolver6v33100L11gemm_kernelI19rocblas_complex_numIdEiS3_PKPS3_S6_S4_EEvT0_S7_S7_T1_bT2_lS7_S7_lbT3_lS7_S7_lS8_T4_lS7_S7_l
; %bb.0:
	s_clause 0x1
	s_load_b32 s2, s[0:1], 0xac
	s_load_b96 s[4:6], s[0:1], 0x0
	s_bfe_u32 s8, ttmp6, 0x40010
	s_bfe_u32 s11, ttmp6, 0x4000c
	s_and_b32 s7, ttmp7, 0xffff
	s_add_co_i32 s8, s8, 1
	s_add_co_i32 s11, s11, 1
	s_bfe_u32 s9, ttmp6, 0x40004
	s_and_b32 s10, ttmp6, 15
	s_mul_i32 s8, s7, s8
	s_mul_i32 s11, ttmp9, s11
	s_getreg_b32 s3, hwreg(HW_REG_IB_STS2, 6, 4)
	v_and_b32_e32 v1, 0x3ff, v0
	v_bfe_u32 v0, v0, 10, 10
	s_add_co_i32 s9, s9, s8
	s_add_co_i32 s10, s10, s11
	s_mov_b32 s17, 0
	s_wait_kmcnt 0x0
	s_lshr_b32 s8, s2, 16
	s_and_b32 s2, s2, 0xffff
	s_cmp_eq_u32 s3, 0
	s_cselect_b32 s10, ttmp9, s10
	s_cselect_b32 s7, s7, s9
	v_mad_u32 v8, s10, s2, v1
	v_mad_u32 v9, s7, s8, v0
	s_delay_alu instid0(VALU_DEP_2) | instskip(NEXT) | instid1(VALU_DEP_2)
	v_cmp_gt_i32_e32 vcc_lo, s4, v8
	v_cmp_gt_i32_e64 s2, s5, v9
	s_and_b32 s2, vcc_lo, s2
	s_delay_alu instid0(SALU_CYCLE_1)
	s_and_saveexec_b32 s4, s2
	s_cbranch_execz .LBB20_6
; %bb.1:
	s_bfe_u32 s2, ttmp6, 0x40014
	s_lshr_b32 s4, ttmp7, 16
	s_add_co_i32 s2, s2, 1
	s_bfe_u32 s5, ttmp6, 0x40008
	s_mul_i32 s2, s4, s2
	s_delay_alu instid0(SALU_CYCLE_1)
	s_add_co_i32 s5, s5, s2
	s_cmp_eq_u32 s3, 0
	s_cselect_b32 s16, s4, s5
	s_cmp_lt_i32 s6, 1
	s_cbranch_scc1 .LBB20_4
; %bb.2:
	s_clause 0x5
	s_load_b128 s[8:11], s[0:1], 0x28
	s_load_b128 s[12:15], s[0:1], 0x50
	s_load_b64 s[2:3], s[0:1], 0x38
	s_load_b64 s[18:19], s[0:1], 0x60
	s_load_b32 s7, s[0:1], 0x20
	s_load_b32 s22, s[0:1], 0x48
	s_wait_kmcnt 0x0
	s_load_b64 s[4:5], s[8:9], s16 offset:0x0 scale_offset
	s_load_b64 s[20:21], s[12:13], s16 offset:0x0 scale_offset
	v_mul_lo_u32 v0, v8, s2
	v_mul_lo_u32 v2, v9, s19
	s_bitcmp1_b32 s7, 0
	s_cselect_b32 vcc_lo, -1, 0
	s_bitcmp1_b32 s22, 0
	s_cselect_b32 s2, -1, 0
	s_wait_xcnt 0x0
	s_lshl_b64 s[8:9], s[10:11], 4
	s_lshl_b64 s[10:11], s[14:15], 4
	s_ashr_i32 s19, s18, 31
	s_delay_alu instid0(VALU_DEP_1) | instskip(SKIP_3) | instid1(VALU_DEP_1)
	v_dual_ashrrev_i32 v1, 31, v0 :: v_dual_ashrrev_i32 v3, 31, v2
	s_wait_kmcnt 0x0
	s_add_nc_u64 s[4:5], s[4:5], s[8:9]
	s_add_nc_u64 s[8:9], s[20:21], s[10:11]
	v_lshl_add_u64 v[4:5], v[0:1], 4, s[4:5]
	v_lshl_add_u64 v[2:3], v[2:3], 4, s[8:9]
	v_mov_b64_e32 v[0:1], 0
	s_ashr_i32 s5, s3, 31
	s_mov_b32 s4, s3
	v_add_nc_u64_e32 v[4:5], 8, v[4:5]
	v_add_nc_u64_e32 v[6:7], 8, v[2:3]
	v_mov_b64_e32 v[2:3], 0
	s_lshl_b64 s[4:5], s[4:5], 4
	s_lshl_b64 s[8:9], s[18:19], 4
.LBB20_3:                               ; =>This Inner Loop Header: Depth=1
	flat_load_b128 v[10:13], v[4:5] offset:-8
	flat_load_b128 v[14:17], v[6:7] offset:-8
	s_wait_xcnt 0x1
	v_add_nc_u64_e32 v[4:5], s[4:5], v[4:5]
	s_wait_xcnt 0x0
	v_add_nc_u64_e32 v[6:7], s[8:9], v[6:7]
	s_add_co_i32 s6, s6, -1
	s_delay_alu instid0(SALU_CYCLE_1) | instskip(SKIP_4) | instid1(VALU_DEP_2)
	s_cmp_eq_u32 s6, 0
	s_wait_loadcnt_dscnt 0x101
	v_xor_b32_e32 v18, 0x80000000, v13
	s_wait_loadcnt_dscnt 0x0
	v_xor_b32_e32 v19, 0x80000000, v17
	v_cndmask_b32_e32 v13, v13, v18, vcc_lo
	s_delay_alu instid0(VALU_DEP_2) | instskip(NEXT) | instid1(VALU_DEP_1)
	v_cndmask_b32_e64 v17, v17, v19, s2
	v_mul_f64_e32 v[18:19], v[12:13], v[16:17]
	v_mul_f64_e32 v[12:13], v[12:13], v[14:15]
	s_delay_alu instid0(VALU_DEP_2) | instskip(NEXT) | instid1(VALU_DEP_2)
	v_fma_f64 v[14:15], v[10:11], v[14:15], -v[18:19]
	v_fmac_f64_e32 v[12:13], v[10:11], v[16:17]
	s_delay_alu instid0(VALU_DEP_2) | instskip(NEXT) | instid1(VALU_DEP_2)
	v_add_f64_e32 v[2:3], v[2:3], v[14:15]
	v_add_f64_e32 v[0:1], v[0:1], v[12:13]
	s_cbranch_scc0 .LBB20_3
	s_branch .LBB20_5
.LBB20_4:
	v_mov_b64_e32 v[0:1], 0
	v_mov_b64_e32 v[2:3], 0
.LBB20_5:
	s_clause 0x1
	s_load_b256 s[4:11], s[0:1], 0x70
	s_load_b128 s[12:15], s[0:1], 0x10
	s_wait_xcnt 0x0
	s_load_b128 s[0:3], s[0:1], 0x90
	s_wait_kmcnt 0x0
	s_delay_alu instid0(VALU_DEP_1) | instskip(SKIP_1) | instid1(VALU_DEP_1)
	v_mul_f64_e32 v[10:11], s[12:13], v[0:1]
	v_mul_lo_u32 v4, v8, s0
	v_mad_u32 v12, v9, s1, v4
	s_mul_u64 s[0:1], s[2:3], s[16:17]
	s_lshl_b64 s[2:3], s[10:11], 4
	s_lshl_b64 s[0:1], s[0:1], 4
	v_mul_f64_e32 v[8:9], s[14:15], v[0:1]
	s_add_nc_u64 s[0:1], s[8:9], s[0:1]
	s_delay_alu instid0(SALU_CYCLE_1)
	s_add_nc_u64 s[0:1], s[0:1], s[2:3]
	global_load_b128 v[4:7], v12, s[0:1] scale_offset
	v_fmac_f64_e32 v[10:11], s[14:15], v[2:3]
	v_fma_f64 v[8:9], s[12:13], v[2:3], -v[8:9]
	s_wait_loadcnt 0x0
	v_mul_f64_e32 v[0:1], s[6:7], v[6:7]
	v_mul_f64_e32 v[6:7], s[4:5], v[6:7]
	s_delay_alu instid0(VALU_DEP_2) | instskip(NEXT) | instid1(VALU_DEP_2)
	v_fma_f64 v[0:1], s[4:5], v[4:5], -v[0:1]
	v_fmac_f64_e32 v[6:7], s[6:7], v[4:5]
	s_delay_alu instid0(VALU_DEP_2) | instskip(NEXT) | instid1(VALU_DEP_2)
	v_add_f64_e32 v[0:1], v[8:9], v[0:1]
	v_add_f64_e32 v[2:3], v[10:11], v[6:7]
	global_store_b128 v12, v[0:3], s[0:1] scale_offset
.LBB20_6:
	s_endpgm
	.section	.rodata,"a",@progbits
	.p2align	6, 0x0
	.amdhsa_kernel _ZN9rocsolver6v33100L11gemm_kernelI19rocblas_complex_numIdEiS3_PKPS3_S6_S4_EEvT0_S7_S7_T1_bT2_lS7_S7_lbT3_lS7_S7_lS8_T4_lS7_S7_l
		.amdhsa_group_segment_fixed_size 0
		.amdhsa_private_segment_fixed_size 0
		.amdhsa_kernarg_size 416
		.amdhsa_user_sgpr_count 2
		.amdhsa_user_sgpr_dispatch_ptr 0
		.amdhsa_user_sgpr_queue_ptr 0
		.amdhsa_user_sgpr_kernarg_segment_ptr 1
		.amdhsa_user_sgpr_dispatch_id 0
		.amdhsa_user_sgpr_kernarg_preload_length 0
		.amdhsa_user_sgpr_kernarg_preload_offset 0
		.amdhsa_user_sgpr_private_segment_size 0
		.amdhsa_wavefront_size32 1
		.amdhsa_uses_dynamic_stack 0
		.amdhsa_enable_private_segment 0
		.amdhsa_system_sgpr_workgroup_id_x 1
		.amdhsa_system_sgpr_workgroup_id_y 1
		.amdhsa_system_sgpr_workgroup_id_z 1
		.amdhsa_system_sgpr_workgroup_info 0
		.amdhsa_system_vgpr_workitem_id 1
		.amdhsa_next_free_vgpr 20
		.amdhsa_next_free_sgpr 23
		.amdhsa_named_barrier_count 0
		.amdhsa_reserve_vcc 1
		.amdhsa_float_round_mode_32 0
		.amdhsa_float_round_mode_16_64 0
		.amdhsa_float_denorm_mode_32 3
		.amdhsa_float_denorm_mode_16_64 3
		.amdhsa_fp16_overflow 0
		.amdhsa_memory_ordered 1
		.amdhsa_forward_progress 1
		.amdhsa_inst_pref_size 6
		.amdhsa_round_robin_scheduling 0
		.amdhsa_exception_fp_ieee_invalid_op 0
		.amdhsa_exception_fp_denorm_src 0
		.amdhsa_exception_fp_ieee_div_zero 0
		.amdhsa_exception_fp_ieee_overflow 0
		.amdhsa_exception_fp_ieee_underflow 0
		.amdhsa_exception_fp_ieee_inexact 0
		.amdhsa_exception_int_div_zero 0
	.end_amdhsa_kernel
	.section	.text._ZN9rocsolver6v33100L11gemm_kernelI19rocblas_complex_numIdEiS3_PKPS3_S6_S4_EEvT0_S7_S7_T1_bT2_lS7_S7_lbT3_lS7_S7_lS8_T4_lS7_S7_l,"axG",@progbits,_ZN9rocsolver6v33100L11gemm_kernelI19rocblas_complex_numIdEiS3_PKPS3_S6_S4_EEvT0_S7_S7_T1_bT2_lS7_S7_lbT3_lS7_S7_lS8_T4_lS7_S7_l,comdat
.Lfunc_end20:
	.size	_ZN9rocsolver6v33100L11gemm_kernelI19rocblas_complex_numIdEiS3_PKPS3_S6_S4_EEvT0_S7_S7_T1_bT2_lS7_S7_lbT3_lS7_S7_lS8_T4_lS7_S7_l, .Lfunc_end20-_ZN9rocsolver6v33100L11gemm_kernelI19rocblas_complex_numIdEiS3_PKPS3_S6_S4_EEvT0_S7_S7_T1_bT2_lS7_S7_lbT3_lS7_S7_lS8_T4_lS7_S7_l
                                        ; -- End function
	.set _ZN9rocsolver6v33100L11gemm_kernelI19rocblas_complex_numIdEiS3_PKPS3_S6_S4_EEvT0_S7_S7_T1_bT2_lS7_S7_lbT3_lS7_S7_lS8_T4_lS7_S7_l.num_vgpr, 20
	.set _ZN9rocsolver6v33100L11gemm_kernelI19rocblas_complex_numIdEiS3_PKPS3_S6_S4_EEvT0_S7_S7_T1_bT2_lS7_S7_lbT3_lS7_S7_lS8_T4_lS7_S7_l.num_agpr, 0
	.set _ZN9rocsolver6v33100L11gemm_kernelI19rocblas_complex_numIdEiS3_PKPS3_S6_S4_EEvT0_S7_S7_T1_bT2_lS7_S7_lbT3_lS7_S7_lS8_T4_lS7_S7_l.numbered_sgpr, 23
	.set _ZN9rocsolver6v33100L11gemm_kernelI19rocblas_complex_numIdEiS3_PKPS3_S6_S4_EEvT0_S7_S7_T1_bT2_lS7_S7_lbT3_lS7_S7_lS8_T4_lS7_S7_l.num_named_barrier, 0
	.set _ZN9rocsolver6v33100L11gemm_kernelI19rocblas_complex_numIdEiS3_PKPS3_S6_S4_EEvT0_S7_S7_T1_bT2_lS7_S7_lbT3_lS7_S7_lS8_T4_lS7_S7_l.private_seg_size, 0
	.set _ZN9rocsolver6v33100L11gemm_kernelI19rocblas_complex_numIdEiS3_PKPS3_S6_S4_EEvT0_S7_S7_T1_bT2_lS7_S7_lbT3_lS7_S7_lS8_T4_lS7_S7_l.uses_vcc, 1
	.set _ZN9rocsolver6v33100L11gemm_kernelI19rocblas_complex_numIdEiS3_PKPS3_S6_S4_EEvT0_S7_S7_T1_bT2_lS7_S7_lbT3_lS7_S7_lS8_T4_lS7_S7_l.uses_flat_scratch, 0
	.set _ZN9rocsolver6v33100L11gemm_kernelI19rocblas_complex_numIdEiS3_PKPS3_S6_S4_EEvT0_S7_S7_T1_bT2_lS7_S7_lbT3_lS7_S7_lS8_T4_lS7_S7_l.has_dyn_sized_stack, 0
	.set _ZN9rocsolver6v33100L11gemm_kernelI19rocblas_complex_numIdEiS3_PKPS3_S6_S4_EEvT0_S7_S7_T1_bT2_lS7_S7_lbT3_lS7_S7_lS8_T4_lS7_S7_l.has_recursion, 0
	.set _ZN9rocsolver6v33100L11gemm_kernelI19rocblas_complex_numIdEiS3_PKPS3_S6_S4_EEvT0_S7_S7_T1_bT2_lS7_S7_lbT3_lS7_S7_lS8_T4_lS7_S7_l.has_indirect_call, 0
	.section	.AMDGPU.csdata,"",@progbits
; Kernel info:
; codeLenInByte = 740
; TotalNumSgprs: 25
; NumVgprs: 20
; ScratchSize: 0
; MemoryBound: 0
; FloatMode: 240
; IeeeMode: 1
; LDSByteSize: 0 bytes/workgroup (compile time only)
; SGPRBlocks: 0
; VGPRBlocks: 1
; NumSGPRsForWavesPerEU: 25
; NumVGPRsForWavesPerEU: 20
; NamedBarCnt: 0
; Occupancy: 16
; WaveLimiterHint : 1
; COMPUTE_PGM_RSRC2:SCRATCH_EN: 0
; COMPUTE_PGM_RSRC2:USER_SGPR: 2
; COMPUTE_PGM_RSRC2:TRAP_HANDLER: 0
; COMPUTE_PGM_RSRC2:TGID_X_EN: 1
; COMPUTE_PGM_RSRC2:TGID_Y_EN: 1
; COMPUTE_PGM_RSRC2:TGID_Z_EN: 1
; COMPUTE_PGM_RSRC2:TIDIG_COMP_CNT: 1
	.section	.text._ZN9rocsolver6v33100L16mfma_gemm_kernelI19rocblas_complex_numIdEiPKS3_PKPS3_S6_S6_EEv18rocblas_operation_S9_T0_SA_SA_T1_T2_lSA_SA_lT3_lSA_SA_lSB_T4_lSA_SA_l,"axG",@progbits,_ZN9rocsolver6v33100L16mfma_gemm_kernelI19rocblas_complex_numIdEiPKS3_PKPS3_S6_S6_EEv18rocblas_operation_S9_T0_SA_SA_T1_T2_lSA_SA_lT3_lSA_SA_lSB_T4_lSA_SA_l,comdat
	.globl	_ZN9rocsolver6v33100L16mfma_gemm_kernelI19rocblas_complex_numIdEiPKS3_PKPS3_S6_S6_EEv18rocblas_operation_S9_T0_SA_SA_T1_T2_lSA_SA_lT3_lSA_SA_lSB_T4_lSA_SA_l ; -- Begin function _ZN9rocsolver6v33100L16mfma_gemm_kernelI19rocblas_complex_numIdEiPKS3_PKPS3_S6_S6_EEv18rocblas_operation_S9_T0_SA_SA_T1_T2_lSA_SA_lT3_lSA_SA_lSB_T4_lSA_SA_l
	.p2align	8
	.type	_ZN9rocsolver6v33100L16mfma_gemm_kernelI19rocblas_complex_numIdEiPKS3_PKPS3_S6_S6_EEv18rocblas_operation_S9_T0_SA_SA_T1_T2_lSA_SA_lT3_lSA_SA_lSB_T4_lSA_SA_l,@function
_ZN9rocsolver6v33100L16mfma_gemm_kernelI19rocblas_complex_numIdEiPKS3_PKPS3_S6_S6_EEv18rocblas_operation_S9_T0_SA_SA_T1_T2_lSA_SA_lT3_lSA_SA_lSB_T4_lSA_SA_l: ; @_ZN9rocsolver6v33100L16mfma_gemm_kernelI19rocblas_complex_numIdEiPKS3_PKPS3_S6_S6_EEv18rocblas_operation_S9_T0_SA_SA_T1_T2_lSA_SA_lT3_lSA_SA_lSB_T4_lSA_SA_l
; %bb.0:
	s_endpgm
	.section	.rodata,"a",@progbits
	.p2align	6, 0x0
	.amdhsa_kernel _ZN9rocsolver6v33100L16mfma_gemm_kernelI19rocblas_complex_numIdEiPKS3_PKPS3_S6_S6_EEv18rocblas_operation_S9_T0_SA_SA_T1_T2_lSA_SA_lT3_lSA_SA_lSB_T4_lSA_SA_l
		.amdhsa_group_segment_fixed_size 0
		.amdhsa_private_segment_fixed_size 0
		.amdhsa_kernarg_size 136
		.amdhsa_user_sgpr_count 2
		.amdhsa_user_sgpr_dispatch_ptr 0
		.amdhsa_user_sgpr_queue_ptr 0
		.amdhsa_user_sgpr_kernarg_segment_ptr 1
		.amdhsa_user_sgpr_dispatch_id 0
		.amdhsa_user_sgpr_kernarg_preload_length 0
		.amdhsa_user_sgpr_kernarg_preload_offset 0
		.amdhsa_user_sgpr_private_segment_size 0
		.amdhsa_wavefront_size32 1
		.amdhsa_uses_dynamic_stack 0
		.amdhsa_enable_private_segment 0
		.amdhsa_system_sgpr_workgroup_id_x 1
		.amdhsa_system_sgpr_workgroup_id_y 0
		.amdhsa_system_sgpr_workgroup_id_z 0
		.amdhsa_system_sgpr_workgroup_info 0
		.amdhsa_system_vgpr_workitem_id 0
		.amdhsa_next_free_vgpr 1
		.amdhsa_next_free_sgpr 1
		.amdhsa_named_barrier_count 0
		.amdhsa_reserve_vcc 0
		.amdhsa_float_round_mode_32 0
		.amdhsa_float_round_mode_16_64 0
		.amdhsa_float_denorm_mode_32 3
		.amdhsa_float_denorm_mode_16_64 3
		.amdhsa_fp16_overflow 0
		.amdhsa_memory_ordered 1
		.amdhsa_forward_progress 1
		.amdhsa_inst_pref_size 1
		.amdhsa_round_robin_scheduling 0
		.amdhsa_exception_fp_ieee_invalid_op 0
		.amdhsa_exception_fp_denorm_src 0
		.amdhsa_exception_fp_ieee_div_zero 0
		.amdhsa_exception_fp_ieee_overflow 0
		.amdhsa_exception_fp_ieee_underflow 0
		.amdhsa_exception_fp_ieee_inexact 0
		.amdhsa_exception_int_div_zero 0
	.end_amdhsa_kernel
	.section	.text._ZN9rocsolver6v33100L16mfma_gemm_kernelI19rocblas_complex_numIdEiPKS3_PKPS3_S6_S6_EEv18rocblas_operation_S9_T0_SA_SA_T1_T2_lSA_SA_lT3_lSA_SA_lSB_T4_lSA_SA_l,"axG",@progbits,_ZN9rocsolver6v33100L16mfma_gemm_kernelI19rocblas_complex_numIdEiPKS3_PKPS3_S6_S6_EEv18rocblas_operation_S9_T0_SA_SA_T1_T2_lSA_SA_lT3_lSA_SA_lSB_T4_lSA_SA_l,comdat
.Lfunc_end21:
	.size	_ZN9rocsolver6v33100L16mfma_gemm_kernelI19rocblas_complex_numIdEiPKS3_PKPS3_S6_S6_EEv18rocblas_operation_S9_T0_SA_SA_T1_T2_lSA_SA_lT3_lSA_SA_lSB_T4_lSA_SA_l, .Lfunc_end21-_ZN9rocsolver6v33100L16mfma_gemm_kernelI19rocblas_complex_numIdEiPKS3_PKPS3_S6_S6_EEv18rocblas_operation_S9_T0_SA_SA_T1_T2_lSA_SA_lT3_lSA_SA_lSB_T4_lSA_SA_l
                                        ; -- End function
	.set _ZN9rocsolver6v33100L16mfma_gemm_kernelI19rocblas_complex_numIdEiPKS3_PKPS3_S6_S6_EEv18rocblas_operation_S9_T0_SA_SA_T1_T2_lSA_SA_lT3_lSA_SA_lSB_T4_lSA_SA_l.num_vgpr, 0
	.set _ZN9rocsolver6v33100L16mfma_gemm_kernelI19rocblas_complex_numIdEiPKS3_PKPS3_S6_S6_EEv18rocblas_operation_S9_T0_SA_SA_T1_T2_lSA_SA_lT3_lSA_SA_lSB_T4_lSA_SA_l.num_agpr, 0
	.set _ZN9rocsolver6v33100L16mfma_gemm_kernelI19rocblas_complex_numIdEiPKS3_PKPS3_S6_S6_EEv18rocblas_operation_S9_T0_SA_SA_T1_T2_lSA_SA_lT3_lSA_SA_lSB_T4_lSA_SA_l.numbered_sgpr, 0
	.set _ZN9rocsolver6v33100L16mfma_gemm_kernelI19rocblas_complex_numIdEiPKS3_PKPS3_S6_S6_EEv18rocblas_operation_S9_T0_SA_SA_T1_T2_lSA_SA_lT3_lSA_SA_lSB_T4_lSA_SA_l.num_named_barrier, 0
	.set _ZN9rocsolver6v33100L16mfma_gemm_kernelI19rocblas_complex_numIdEiPKS3_PKPS3_S6_S6_EEv18rocblas_operation_S9_T0_SA_SA_T1_T2_lSA_SA_lT3_lSA_SA_lSB_T4_lSA_SA_l.private_seg_size, 0
	.set _ZN9rocsolver6v33100L16mfma_gemm_kernelI19rocblas_complex_numIdEiPKS3_PKPS3_S6_S6_EEv18rocblas_operation_S9_T0_SA_SA_T1_T2_lSA_SA_lT3_lSA_SA_lSB_T4_lSA_SA_l.uses_vcc, 0
	.set _ZN9rocsolver6v33100L16mfma_gemm_kernelI19rocblas_complex_numIdEiPKS3_PKPS3_S6_S6_EEv18rocblas_operation_S9_T0_SA_SA_T1_T2_lSA_SA_lT3_lSA_SA_lSB_T4_lSA_SA_l.uses_flat_scratch, 0
	.set _ZN9rocsolver6v33100L16mfma_gemm_kernelI19rocblas_complex_numIdEiPKS3_PKPS3_S6_S6_EEv18rocblas_operation_S9_T0_SA_SA_T1_T2_lSA_SA_lT3_lSA_SA_lSB_T4_lSA_SA_l.has_dyn_sized_stack, 0
	.set _ZN9rocsolver6v33100L16mfma_gemm_kernelI19rocblas_complex_numIdEiPKS3_PKPS3_S6_S6_EEv18rocblas_operation_S9_T0_SA_SA_T1_T2_lSA_SA_lT3_lSA_SA_lSB_T4_lSA_SA_l.has_recursion, 0
	.set _ZN9rocsolver6v33100L16mfma_gemm_kernelI19rocblas_complex_numIdEiPKS3_PKPS3_S6_S6_EEv18rocblas_operation_S9_T0_SA_SA_T1_T2_lSA_SA_lT3_lSA_SA_lSB_T4_lSA_SA_l.has_indirect_call, 0
	.section	.AMDGPU.csdata,"",@progbits
; Kernel info:
; codeLenInByte = 4
; TotalNumSgprs: 0
; NumVgprs: 0
; ScratchSize: 0
; MemoryBound: 0
; FloatMode: 240
; IeeeMode: 1
; LDSByteSize: 0 bytes/workgroup (compile time only)
; SGPRBlocks: 0
; VGPRBlocks: 0
; NumSGPRsForWavesPerEU: 1
; NumVGPRsForWavesPerEU: 1
; NamedBarCnt: 0
; Occupancy: 16
; WaveLimiterHint : 0
; COMPUTE_PGM_RSRC2:SCRATCH_EN: 0
; COMPUTE_PGM_RSRC2:USER_SGPR: 2
; COMPUTE_PGM_RSRC2:TRAP_HANDLER: 0
; COMPUTE_PGM_RSRC2:TGID_X_EN: 1
; COMPUTE_PGM_RSRC2:TGID_Y_EN: 0
; COMPUTE_PGM_RSRC2:TGID_Z_EN: 0
; COMPUTE_PGM_RSRC2:TIDIG_COMP_CNT: 0
	.section	.text._ZN9rocsolver6v33100L16mfma_gemm_kernelI19rocblas_complex_numIdEiS3_PKPS3_S4_S4_EEv18rocblas_operation_S7_T0_S8_S8_T1_T2_lS8_S8_lT3_lS8_S8_lS9_T4_lS8_S8_l,"axG",@progbits,_ZN9rocsolver6v33100L16mfma_gemm_kernelI19rocblas_complex_numIdEiS3_PKPS3_S4_S4_EEv18rocblas_operation_S7_T0_S8_S8_T1_T2_lS8_S8_lT3_lS8_S8_lS9_T4_lS8_S8_l,comdat
	.globl	_ZN9rocsolver6v33100L16mfma_gemm_kernelI19rocblas_complex_numIdEiS3_PKPS3_S4_S4_EEv18rocblas_operation_S7_T0_S8_S8_T1_T2_lS8_S8_lT3_lS8_S8_lS9_T4_lS8_S8_l ; -- Begin function _ZN9rocsolver6v33100L16mfma_gemm_kernelI19rocblas_complex_numIdEiS3_PKPS3_S4_S4_EEv18rocblas_operation_S7_T0_S8_S8_T1_T2_lS8_S8_lT3_lS8_S8_lS9_T4_lS8_S8_l
	.p2align	8
	.type	_ZN9rocsolver6v33100L16mfma_gemm_kernelI19rocblas_complex_numIdEiS3_PKPS3_S4_S4_EEv18rocblas_operation_S7_T0_S8_S8_T1_T2_lS8_S8_lT3_lS8_S8_lS9_T4_lS8_S8_l,@function
_ZN9rocsolver6v33100L16mfma_gemm_kernelI19rocblas_complex_numIdEiS3_PKPS3_S4_S4_EEv18rocblas_operation_S7_T0_S8_S8_T1_T2_lS8_S8_lT3_lS8_S8_lS9_T4_lS8_S8_l: ; @_ZN9rocsolver6v33100L16mfma_gemm_kernelI19rocblas_complex_numIdEiS3_PKPS3_S4_S4_EEv18rocblas_operation_S7_T0_S8_S8_T1_T2_lS8_S8_lT3_lS8_S8_lS9_T4_lS8_S8_l
; %bb.0:
	s_endpgm
	.section	.rodata,"a",@progbits
	.p2align	6, 0x0
	.amdhsa_kernel _ZN9rocsolver6v33100L16mfma_gemm_kernelI19rocblas_complex_numIdEiS3_PKPS3_S4_S4_EEv18rocblas_operation_S7_T0_S8_S8_T1_T2_lS8_S8_lT3_lS8_S8_lS9_T4_lS8_S8_l
		.amdhsa_group_segment_fixed_size 0
		.amdhsa_private_segment_fixed_size 0
		.amdhsa_kernarg_size 152
		.amdhsa_user_sgpr_count 2
		.amdhsa_user_sgpr_dispatch_ptr 0
		.amdhsa_user_sgpr_queue_ptr 0
		.amdhsa_user_sgpr_kernarg_segment_ptr 1
		.amdhsa_user_sgpr_dispatch_id 0
		.amdhsa_user_sgpr_kernarg_preload_length 0
		.amdhsa_user_sgpr_kernarg_preload_offset 0
		.amdhsa_user_sgpr_private_segment_size 0
		.amdhsa_wavefront_size32 1
		.amdhsa_uses_dynamic_stack 0
		.amdhsa_enable_private_segment 0
		.amdhsa_system_sgpr_workgroup_id_x 1
		.amdhsa_system_sgpr_workgroup_id_y 0
		.amdhsa_system_sgpr_workgroup_id_z 0
		.amdhsa_system_sgpr_workgroup_info 0
		.amdhsa_system_vgpr_workitem_id 0
		.amdhsa_next_free_vgpr 1
		.amdhsa_next_free_sgpr 1
		.amdhsa_named_barrier_count 0
		.amdhsa_reserve_vcc 0
		.amdhsa_float_round_mode_32 0
		.amdhsa_float_round_mode_16_64 0
		.amdhsa_float_denorm_mode_32 3
		.amdhsa_float_denorm_mode_16_64 3
		.amdhsa_fp16_overflow 0
		.amdhsa_memory_ordered 1
		.amdhsa_forward_progress 1
		.amdhsa_inst_pref_size 1
		.amdhsa_round_robin_scheduling 0
		.amdhsa_exception_fp_ieee_invalid_op 0
		.amdhsa_exception_fp_denorm_src 0
		.amdhsa_exception_fp_ieee_div_zero 0
		.amdhsa_exception_fp_ieee_overflow 0
		.amdhsa_exception_fp_ieee_underflow 0
		.amdhsa_exception_fp_ieee_inexact 0
		.amdhsa_exception_int_div_zero 0
	.end_amdhsa_kernel
	.section	.text._ZN9rocsolver6v33100L16mfma_gemm_kernelI19rocblas_complex_numIdEiS3_PKPS3_S4_S4_EEv18rocblas_operation_S7_T0_S8_S8_T1_T2_lS8_S8_lT3_lS8_S8_lS9_T4_lS8_S8_l,"axG",@progbits,_ZN9rocsolver6v33100L16mfma_gemm_kernelI19rocblas_complex_numIdEiS3_PKPS3_S4_S4_EEv18rocblas_operation_S7_T0_S8_S8_T1_T2_lS8_S8_lT3_lS8_S8_lS9_T4_lS8_S8_l,comdat
.Lfunc_end22:
	.size	_ZN9rocsolver6v33100L16mfma_gemm_kernelI19rocblas_complex_numIdEiS3_PKPS3_S4_S4_EEv18rocblas_operation_S7_T0_S8_S8_T1_T2_lS8_S8_lT3_lS8_S8_lS9_T4_lS8_S8_l, .Lfunc_end22-_ZN9rocsolver6v33100L16mfma_gemm_kernelI19rocblas_complex_numIdEiS3_PKPS3_S4_S4_EEv18rocblas_operation_S7_T0_S8_S8_T1_T2_lS8_S8_lT3_lS8_S8_lS9_T4_lS8_S8_l
                                        ; -- End function
	.set _ZN9rocsolver6v33100L16mfma_gemm_kernelI19rocblas_complex_numIdEiS3_PKPS3_S4_S4_EEv18rocblas_operation_S7_T0_S8_S8_T1_T2_lS8_S8_lT3_lS8_S8_lS9_T4_lS8_S8_l.num_vgpr, 0
	.set _ZN9rocsolver6v33100L16mfma_gemm_kernelI19rocblas_complex_numIdEiS3_PKPS3_S4_S4_EEv18rocblas_operation_S7_T0_S8_S8_T1_T2_lS8_S8_lT3_lS8_S8_lS9_T4_lS8_S8_l.num_agpr, 0
	.set _ZN9rocsolver6v33100L16mfma_gemm_kernelI19rocblas_complex_numIdEiS3_PKPS3_S4_S4_EEv18rocblas_operation_S7_T0_S8_S8_T1_T2_lS8_S8_lT3_lS8_S8_lS9_T4_lS8_S8_l.numbered_sgpr, 0
	.set _ZN9rocsolver6v33100L16mfma_gemm_kernelI19rocblas_complex_numIdEiS3_PKPS3_S4_S4_EEv18rocblas_operation_S7_T0_S8_S8_T1_T2_lS8_S8_lT3_lS8_S8_lS9_T4_lS8_S8_l.num_named_barrier, 0
	.set _ZN9rocsolver6v33100L16mfma_gemm_kernelI19rocblas_complex_numIdEiS3_PKPS3_S4_S4_EEv18rocblas_operation_S7_T0_S8_S8_T1_T2_lS8_S8_lT3_lS8_S8_lS9_T4_lS8_S8_l.private_seg_size, 0
	.set _ZN9rocsolver6v33100L16mfma_gemm_kernelI19rocblas_complex_numIdEiS3_PKPS3_S4_S4_EEv18rocblas_operation_S7_T0_S8_S8_T1_T2_lS8_S8_lT3_lS8_S8_lS9_T4_lS8_S8_l.uses_vcc, 0
	.set _ZN9rocsolver6v33100L16mfma_gemm_kernelI19rocblas_complex_numIdEiS3_PKPS3_S4_S4_EEv18rocblas_operation_S7_T0_S8_S8_T1_T2_lS8_S8_lT3_lS8_S8_lS9_T4_lS8_S8_l.uses_flat_scratch, 0
	.set _ZN9rocsolver6v33100L16mfma_gemm_kernelI19rocblas_complex_numIdEiS3_PKPS3_S4_S4_EEv18rocblas_operation_S7_T0_S8_S8_T1_T2_lS8_S8_lT3_lS8_S8_lS9_T4_lS8_S8_l.has_dyn_sized_stack, 0
	.set _ZN9rocsolver6v33100L16mfma_gemm_kernelI19rocblas_complex_numIdEiS3_PKPS3_S4_S4_EEv18rocblas_operation_S7_T0_S8_S8_T1_T2_lS8_S8_lT3_lS8_S8_lS9_T4_lS8_S8_l.has_recursion, 0
	.set _ZN9rocsolver6v33100L16mfma_gemm_kernelI19rocblas_complex_numIdEiS3_PKPS3_S4_S4_EEv18rocblas_operation_S7_T0_S8_S8_T1_T2_lS8_S8_lT3_lS8_S8_lS9_T4_lS8_S8_l.has_indirect_call, 0
	.section	.AMDGPU.csdata,"",@progbits
; Kernel info:
; codeLenInByte = 4
; TotalNumSgprs: 0
; NumVgprs: 0
; ScratchSize: 0
; MemoryBound: 0
; FloatMode: 240
; IeeeMode: 1
; LDSByteSize: 0 bytes/workgroup (compile time only)
; SGPRBlocks: 0
; VGPRBlocks: 0
; NumSGPRsForWavesPerEU: 1
; NumVGPRsForWavesPerEU: 1
; NamedBarCnt: 0
; Occupancy: 16
; WaveLimiterHint : 0
; COMPUTE_PGM_RSRC2:SCRATCH_EN: 0
; COMPUTE_PGM_RSRC2:USER_SGPR: 2
; COMPUTE_PGM_RSRC2:TRAP_HANDLER: 0
; COMPUTE_PGM_RSRC2:TGID_X_EN: 1
; COMPUTE_PGM_RSRC2:TGID_Y_EN: 0
; COMPUTE_PGM_RSRC2:TGID_Z_EN: 0
; COMPUTE_PGM_RSRC2:TIDIG_COMP_CNT: 0
	.section	.text._ZN9rocsolver6v33100L11gemm_kernelI19rocblas_complex_numIdEiPKS3_PKPS3_S6_S6_EEvT0_S9_S9_T1_bT2_lS9_S9_lbT3_lS9_S9_lSA_T4_lS9_S9_l,"axG",@progbits,_ZN9rocsolver6v33100L11gemm_kernelI19rocblas_complex_numIdEiPKS3_PKPS3_S6_S6_EEvT0_S9_S9_T1_bT2_lS9_S9_lbT3_lS9_S9_lSA_T4_lS9_S9_l,comdat
	.globl	_ZN9rocsolver6v33100L11gemm_kernelI19rocblas_complex_numIdEiPKS3_PKPS3_S6_S6_EEvT0_S9_S9_T1_bT2_lS9_S9_lbT3_lS9_S9_lSA_T4_lS9_S9_l ; -- Begin function _ZN9rocsolver6v33100L11gemm_kernelI19rocblas_complex_numIdEiPKS3_PKPS3_S6_S6_EEvT0_S9_S9_T1_bT2_lS9_S9_lbT3_lS9_S9_lSA_T4_lS9_S9_l
	.p2align	8
	.type	_ZN9rocsolver6v33100L11gemm_kernelI19rocblas_complex_numIdEiPKS3_PKPS3_S6_S6_EEvT0_S9_S9_T1_bT2_lS9_S9_lbT3_lS9_S9_lSA_T4_lS9_S9_l,@function
_ZN9rocsolver6v33100L11gemm_kernelI19rocblas_complex_numIdEiPKS3_PKPS3_S6_S6_EEvT0_S9_S9_T1_bT2_lS9_S9_lbT3_lS9_S9_lSA_T4_lS9_S9_l: ; @_ZN9rocsolver6v33100L11gemm_kernelI19rocblas_complex_numIdEiPKS3_PKPS3_S6_S6_EEvT0_S9_S9_T1_bT2_lS9_S9_lbT3_lS9_S9_lSA_T4_lS9_S9_l
; %bb.0:
	s_clause 0x1
	s_load_b32 s2, s[0:1], 0x9c
	s_load_b96 s[12:14], s[0:1], 0x0
	s_bfe_u32 s5, ttmp6, 0x40010
	s_bfe_u32 s8, ttmp6, 0x4000c
	s_and_b32 s4, ttmp7, 0xffff
	s_add_co_i32 s5, s5, 1
	s_add_co_i32 s8, s8, 1
	s_bfe_u32 s6, ttmp6, 0x40004
	s_and_b32 s7, ttmp6, 15
	s_mul_i32 s5, s4, s5
	s_mul_i32 s8, ttmp9, s8
	s_getreg_b32 s3, hwreg(HW_REG_IB_STS2, 6, 4)
	v_and_b32_e32 v1, 0x3ff, v0
	v_bfe_u32 v0, v0, 10, 10
	s_add_co_i32 s6, s6, s5
	s_add_co_i32 s7, s7, s8
	s_mov_b32 s21, 0
	s_wait_kmcnt 0x0
	s_lshr_b32 s5, s2, 16
	s_and_b32 s2, s2, 0xffff
	s_cmp_eq_u32 s3, 0
	s_cselect_b32 s7, ttmp9, s7
	s_cselect_b32 s4, s4, s6
	v_mad_u32 v8, s7, s2, v1
	v_mad_u32 v9, s4, s5, v0
	s_delay_alu instid0(VALU_DEP_2) | instskip(NEXT) | instid1(VALU_DEP_2)
	v_cmp_gt_i32_e32 vcc_lo, s12, v8
	v_cmp_gt_i32_e64 s2, s13, v9
	s_and_b32 s2, vcc_lo, s2
	s_delay_alu instid0(SALU_CYCLE_1)
	s_and_saveexec_b32 s4, s2
	s_cbranch_execz .LBB23_6
; %bb.1:
	s_clause 0x1
	s_load_b64 s[22:23], s[0:1], 0x10
	s_load_b256 s[4:11], s[0:1], 0x60
	s_bfe_u32 s2, ttmp6, 0x40014
	s_lshr_b32 s12, ttmp7, 16
	s_add_co_i32 s2, s2, 1
	s_bfe_u32 s13, ttmp6, 0x40008
	s_mul_i32 s2, s12, s2
	s_delay_alu instid0(SALU_CYCLE_1)
	s_add_co_i32 s13, s13, s2
	s_cmp_eq_u32 s3, 0
	s_cselect_b32 s20, s12, s13
	s_cmp_lt_i32 s14, 1
	s_cbranch_scc1 .LBB23_4
; %bb.2:
	s_clause 0x5
	s_load_b128 s[16:19], s[0:1], 0x20
	s_load_b32 s15, s[0:1], 0x18
	s_load_b64 s[12:13], s[0:1], 0x58
	s_load_b64 s[2:3], s[0:1], 0x30
	s_load_b32 s28, s[0:1], 0x40
	s_load_b128 s[24:27], s[0:1], 0x48
	s_wait_kmcnt 0x0
	s_mul_u64 s[4:5], s[4:5], s[20:21]
	s_load_b64 s[16:17], s[16:17], s20 offset:0x0 scale_offset
	s_bitcmp1_b32 s15, 0
	v_mul_lo_u32 v0, v9, s13
	v_mul_lo_u32 v2, v8, s2
	s_cselect_b32 vcc_lo, -1, 0
	s_bitcmp1_b32 s28, 0
	s_cselect_b32 s2, -1, 0
	s_lshl_b64 s[4:5], s[4:5], 4
	s_lshl_b64 s[26:27], s[26:27], 4
	;; [unrolled: 1-line block ×3, first 2 shown]
	s_add_nc_u64 s[4:5], s[4:5], s[26:27]
	s_ashr_i32 s13, s12, 31
	s_delay_alu instid0(VALU_DEP_1) | instskip(SKIP_2) | instid1(VALU_DEP_1)
	v_dual_ashrrev_i32 v1, 31, v0 :: v_dual_ashrrev_i32 v3, 31, v2
	s_add_nc_u64 s[4:5], s[24:25], s[4:5]
	s_lshl_b64 s[12:13], s[12:13], 4
	v_lshl_add_u64 v[4:5], v[0:1], 4, s[4:5]
	v_mov_b64_e32 v[0:1], 0
	s_wait_kmcnt 0x0
	s_add_nc_u64 s[16:17], s[16:17], s[18:19]
	s_ashr_i32 s5, s3, 31
	v_lshl_add_u64 v[2:3], v[2:3], 4, s[16:17]
	v_add_nc_u64_e32 v[4:5], 8, v[4:5]
	s_mov_b32 s4, s3
	s_delay_alu instid0(SALU_CYCLE_1) | instskip(NEXT) | instid1(VALU_DEP_2)
	s_lshl_b64 s[4:5], s[4:5], 4
	v_add_nc_u64_e32 v[6:7], 8, v[2:3]
	v_mov_b64_e32 v[2:3], 0
.LBB23_3:                               ; =>This Inner Loop Header: Depth=1
	flat_load_b128 v[10:13], v[6:7] offset:-8
	global_load_b128 v[14:17], v[4:5], off offset:-8
	s_wait_xcnt 0x1
	v_add_nc_u64_e32 v[6:7], s[4:5], v[6:7]
	s_wait_xcnt 0x0
	v_add_nc_u64_e32 v[4:5], s[12:13], v[4:5]
	s_add_co_i32 s14, s14, -1
	s_delay_alu instid0(SALU_CYCLE_1) | instskip(SKIP_4) | instid1(VALU_DEP_2)
	s_cmp_eq_u32 s14, 0
	s_wait_loadcnt_dscnt 0x100
	v_xor_b32_e32 v18, 0x80000000, v13
	s_wait_loadcnt 0x0
	v_xor_b32_e32 v19, 0x80000000, v17
	v_cndmask_b32_e32 v13, v13, v18, vcc_lo
	s_delay_alu instid0(VALU_DEP_2) | instskip(NEXT) | instid1(VALU_DEP_1)
	v_cndmask_b32_e64 v17, v17, v19, s2
	v_mul_f64_e32 v[18:19], v[12:13], v[16:17]
	v_mul_f64_e32 v[12:13], v[12:13], v[14:15]
	s_delay_alu instid0(VALU_DEP_2) | instskip(NEXT) | instid1(VALU_DEP_2)
	v_fma_f64 v[14:15], v[10:11], v[14:15], -v[18:19]
	v_fmac_f64_e32 v[12:13], v[10:11], v[16:17]
	s_delay_alu instid0(VALU_DEP_2) | instskip(NEXT) | instid1(VALU_DEP_2)
	v_add_f64_e32 v[2:3], v[2:3], v[14:15]
	v_add_f64_e32 v[0:1], v[0:1], v[12:13]
	s_cbranch_scc0 .LBB23_3
	s_branch .LBB23_5
.LBB23_4:
	v_mov_b64_e32 v[0:1], 0
	v_mov_b64_e32 v[2:3], 0
.LBB23_5:
	s_wait_kmcnt 0x0
	s_load_b128 s[16:19], s[22:23], 0x0
	s_load_b128 s[12:15], s[6:7], 0x0
                                        ; kill: killed $sgpr6_sgpr7
                                        ; kill: killed $sgpr22_sgpr23
	s_nop 0
	s_load_b128 s[0:3], s[0:1], 0x80
	s_wait_kmcnt 0x0
	s_delay_alu instid0(VALU_DEP_1) | instskip(SKIP_1) | instid1(VALU_DEP_1)
	v_mul_f64_e32 v[10:11], s[16:17], v[0:1]
	v_mul_lo_u32 v4, v8, s0
	v_mad_u32 v12, v9, s1, v4
	s_mul_u64 s[0:1], s[2:3], s[20:21]
	s_lshl_b64 s[2:3], s[10:11], 4
	s_lshl_b64 s[0:1], s[0:1], 4
	v_mul_f64_e32 v[8:9], s[18:19], v[0:1]
	s_add_nc_u64 s[0:1], s[8:9], s[0:1]
	s_delay_alu instid0(SALU_CYCLE_1)
	s_add_nc_u64 s[0:1], s[0:1], s[2:3]
	global_load_b128 v[4:7], v12, s[0:1] scale_offset
	v_fmac_f64_e32 v[10:11], s[18:19], v[2:3]
	v_fma_f64 v[8:9], s[16:17], v[2:3], -v[8:9]
	s_wait_loadcnt 0x0
	v_mul_f64_e32 v[0:1], s[14:15], v[6:7]
	v_mul_f64_e32 v[6:7], s[12:13], v[6:7]
	s_delay_alu instid0(VALU_DEP_2) | instskip(NEXT) | instid1(VALU_DEP_2)
	v_fma_f64 v[0:1], s[12:13], v[4:5], -v[0:1]
	v_fmac_f64_e32 v[6:7], s[14:15], v[4:5]
	s_delay_alu instid0(VALU_DEP_2) | instskip(NEXT) | instid1(VALU_DEP_2)
	v_add_f64_e32 v[0:1], v[8:9], v[0:1]
	v_add_f64_e32 v[2:3], v[10:11], v[6:7]
	global_store_b128 v12, v[0:3], s[0:1] scale_offset
.LBB23_6:
	s_endpgm
	.section	.rodata,"a",@progbits
	.p2align	6, 0x0
	.amdhsa_kernel _ZN9rocsolver6v33100L11gemm_kernelI19rocblas_complex_numIdEiPKS3_PKPS3_S6_S6_EEvT0_S9_S9_T1_bT2_lS9_S9_lbT3_lS9_S9_lSA_T4_lS9_S9_l
		.amdhsa_group_segment_fixed_size 0
		.amdhsa_private_segment_fixed_size 0
		.amdhsa_kernarg_size 400
		.amdhsa_user_sgpr_count 2
		.amdhsa_user_sgpr_dispatch_ptr 0
		.amdhsa_user_sgpr_queue_ptr 0
		.amdhsa_user_sgpr_kernarg_segment_ptr 1
		.amdhsa_user_sgpr_dispatch_id 0
		.amdhsa_user_sgpr_kernarg_preload_length 0
		.amdhsa_user_sgpr_kernarg_preload_offset 0
		.amdhsa_user_sgpr_private_segment_size 0
		.amdhsa_wavefront_size32 1
		.amdhsa_uses_dynamic_stack 0
		.amdhsa_enable_private_segment 0
		.amdhsa_system_sgpr_workgroup_id_x 1
		.amdhsa_system_sgpr_workgroup_id_y 1
		.amdhsa_system_sgpr_workgroup_id_z 1
		.amdhsa_system_sgpr_workgroup_info 0
		.amdhsa_system_vgpr_workitem_id 1
		.amdhsa_next_free_vgpr 20
		.amdhsa_next_free_sgpr 29
		.amdhsa_named_barrier_count 0
		.amdhsa_reserve_vcc 1
		.amdhsa_float_round_mode_32 0
		.amdhsa_float_round_mode_16_64 0
		.amdhsa_float_denorm_mode_32 3
		.amdhsa_float_denorm_mode_16_64 3
		.amdhsa_fp16_overflow 0
		.amdhsa_memory_ordered 1
		.amdhsa_forward_progress 1
		.amdhsa_inst_pref_size 6
		.amdhsa_round_robin_scheduling 0
		.amdhsa_exception_fp_ieee_invalid_op 0
		.amdhsa_exception_fp_denorm_src 0
		.amdhsa_exception_fp_ieee_div_zero 0
		.amdhsa_exception_fp_ieee_overflow 0
		.amdhsa_exception_fp_ieee_underflow 0
		.amdhsa_exception_fp_ieee_inexact 0
		.amdhsa_exception_int_div_zero 0
	.end_amdhsa_kernel
	.section	.text._ZN9rocsolver6v33100L11gemm_kernelI19rocblas_complex_numIdEiPKS3_PKPS3_S6_S6_EEvT0_S9_S9_T1_bT2_lS9_S9_lbT3_lS9_S9_lSA_T4_lS9_S9_l,"axG",@progbits,_ZN9rocsolver6v33100L11gemm_kernelI19rocblas_complex_numIdEiPKS3_PKPS3_S6_S6_EEvT0_S9_S9_T1_bT2_lS9_S9_lbT3_lS9_S9_lSA_T4_lS9_S9_l,comdat
.Lfunc_end23:
	.size	_ZN9rocsolver6v33100L11gemm_kernelI19rocblas_complex_numIdEiPKS3_PKPS3_S6_S6_EEvT0_S9_S9_T1_bT2_lS9_S9_lbT3_lS9_S9_lSA_T4_lS9_S9_l, .Lfunc_end23-_ZN9rocsolver6v33100L11gemm_kernelI19rocblas_complex_numIdEiPKS3_PKPS3_S6_S6_EEvT0_S9_S9_T1_bT2_lS9_S9_lbT3_lS9_S9_lSA_T4_lS9_S9_l
                                        ; -- End function
	.set _ZN9rocsolver6v33100L11gemm_kernelI19rocblas_complex_numIdEiPKS3_PKPS3_S6_S6_EEvT0_S9_S9_T1_bT2_lS9_S9_lbT3_lS9_S9_lSA_T4_lS9_S9_l.num_vgpr, 20
	.set _ZN9rocsolver6v33100L11gemm_kernelI19rocblas_complex_numIdEiPKS3_PKPS3_S6_S6_EEvT0_S9_S9_T1_bT2_lS9_S9_lbT3_lS9_S9_lSA_T4_lS9_S9_l.num_agpr, 0
	.set _ZN9rocsolver6v33100L11gemm_kernelI19rocblas_complex_numIdEiPKS3_PKPS3_S6_S6_EEvT0_S9_S9_T1_bT2_lS9_S9_lbT3_lS9_S9_lSA_T4_lS9_S9_l.numbered_sgpr, 29
	.set _ZN9rocsolver6v33100L11gemm_kernelI19rocblas_complex_numIdEiPKS3_PKPS3_S6_S6_EEvT0_S9_S9_T1_bT2_lS9_S9_lbT3_lS9_S9_lSA_T4_lS9_S9_l.num_named_barrier, 0
	.set _ZN9rocsolver6v33100L11gemm_kernelI19rocblas_complex_numIdEiPKS3_PKPS3_S6_S6_EEvT0_S9_S9_T1_bT2_lS9_S9_lbT3_lS9_S9_lSA_T4_lS9_S9_l.private_seg_size, 0
	.set _ZN9rocsolver6v33100L11gemm_kernelI19rocblas_complex_numIdEiPKS3_PKPS3_S6_S6_EEvT0_S9_S9_T1_bT2_lS9_S9_lbT3_lS9_S9_lSA_T4_lS9_S9_l.uses_vcc, 1
	.set _ZN9rocsolver6v33100L11gemm_kernelI19rocblas_complex_numIdEiPKS3_PKPS3_S6_S6_EEvT0_S9_S9_T1_bT2_lS9_S9_lbT3_lS9_S9_lSA_T4_lS9_S9_l.uses_flat_scratch, 0
	.set _ZN9rocsolver6v33100L11gemm_kernelI19rocblas_complex_numIdEiPKS3_PKPS3_S6_S6_EEvT0_S9_S9_T1_bT2_lS9_S9_lbT3_lS9_S9_lSA_T4_lS9_S9_l.has_dyn_sized_stack, 0
	.set _ZN9rocsolver6v33100L11gemm_kernelI19rocblas_complex_numIdEiPKS3_PKPS3_S6_S6_EEvT0_S9_S9_T1_bT2_lS9_S9_lbT3_lS9_S9_lSA_T4_lS9_S9_l.has_recursion, 0
	.set _ZN9rocsolver6v33100L11gemm_kernelI19rocblas_complex_numIdEiPKS3_PKPS3_S6_S6_EEvT0_S9_S9_T1_bT2_lS9_S9_lbT3_lS9_S9_lSA_T4_lS9_S9_l.has_indirect_call, 0
	.section	.AMDGPU.csdata,"",@progbits
; Kernel info:
; codeLenInByte = 764
; TotalNumSgprs: 31
; NumVgprs: 20
; ScratchSize: 0
; MemoryBound: 0
; FloatMode: 240
; IeeeMode: 1
; LDSByteSize: 0 bytes/workgroup (compile time only)
; SGPRBlocks: 0
; VGPRBlocks: 1
; NumSGPRsForWavesPerEU: 31
; NumVGPRsForWavesPerEU: 20
; NamedBarCnt: 0
; Occupancy: 16
; WaveLimiterHint : 1
; COMPUTE_PGM_RSRC2:SCRATCH_EN: 0
; COMPUTE_PGM_RSRC2:USER_SGPR: 2
; COMPUTE_PGM_RSRC2:TRAP_HANDLER: 0
; COMPUTE_PGM_RSRC2:TGID_X_EN: 1
; COMPUTE_PGM_RSRC2:TGID_Y_EN: 1
; COMPUTE_PGM_RSRC2:TGID_Z_EN: 1
; COMPUTE_PGM_RSRC2:TIDIG_COMP_CNT: 1
	.section	.text._ZN9rocsolver6v33100L11gemm_kernelI19rocblas_complex_numIdEiS3_PKPS3_S4_S4_EEvT0_S7_S7_T1_bT2_lS7_S7_lbT3_lS7_S7_lS8_T4_lS7_S7_l,"axG",@progbits,_ZN9rocsolver6v33100L11gemm_kernelI19rocblas_complex_numIdEiS3_PKPS3_S4_S4_EEvT0_S7_S7_T1_bT2_lS7_S7_lbT3_lS7_S7_lS8_T4_lS7_S7_l,comdat
	.globl	_ZN9rocsolver6v33100L11gemm_kernelI19rocblas_complex_numIdEiS3_PKPS3_S4_S4_EEvT0_S7_S7_T1_bT2_lS7_S7_lbT3_lS7_S7_lS8_T4_lS7_S7_l ; -- Begin function _ZN9rocsolver6v33100L11gemm_kernelI19rocblas_complex_numIdEiS3_PKPS3_S4_S4_EEvT0_S7_S7_T1_bT2_lS7_S7_lbT3_lS7_S7_lS8_T4_lS7_S7_l
	.p2align	8
	.type	_ZN9rocsolver6v33100L11gemm_kernelI19rocblas_complex_numIdEiS3_PKPS3_S4_S4_EEvT0_S7_S7_T1_bT2_lS7_S7_lbT3_lS7_S7_lS8_T4_lS7_S7_l,@function
_ZN9rocsolver6v33100L11gemm_kernelI19rocblas_complex_numIdEiS3_PKPS3_S4_S4_EEvT0_S7_S7_T1_bT2_lS7_S7_lbT3_lS7_S7_lS8_T4_lS7_S7_l: ; @_ZN9rocsolver6v33100L11gemm_kernelI19rocblas_complex_numIdEiS3_PKPS3_S4_S4_EEvT0_S7_S7_T1_bT2_lS7_S7_lbT3_lS7_S7_lS8_T4_lS7_S7_l
; %bb.0:
	s_clause 0x1
	s_load_b32 s2, s[0:1], 0xac
	s_load_b96 s[12:14], s[0:1], 0x0
	s_bfe_u32 s5, ttmp6, 0x40010
	s_bfe_u32 s8, ttmp6, 0x4000c
	s_and_b32 s4, ttmp7, 0xffff
	s_add_co_i32 s5, s5, 1
	s_add_co_i32 s8, s8, 1
	s_bfe_u32 s6, ttmp6, 0x40004
	s_and_b32 s7, ttmp6, 15
	s_mul_i32 s5, s4, s5
	s_mul_i32 s8, ttmp9, s8
	s_getreg_b32 s3, hwreg(HW_REG_IB_STS2, 6, 4)
	v_and_b32_e32 v1, 0x3ff, v0
	v_bfe_u32 v0, v0, 10, 10
	s_add_co_i32 s6, s6, s5
	s_add_co_i32 s7, s7, s8
	s_mov_b32 s17, 0
	s_wait_kmcnt 0x0
	s_lshr_b32 s5, s2, 16
	s_and_b32 s2, s2, 0xffff
	s_cmp_eq_u32 s3, 0
	s_cselect_b32 s7, ttmp9, s7
	s_cselect_b32 s4, s4, s6
	v_mad_u32 v8, s7, s2, v1
	v_mad_u32 v9, s4, s5, v0
	s_delay_alu instid0(VALU_DEP_2) | instskip(NEXT) | instid1(VALU_DEP_2)
	v_cmp_gt_i32_e32 vcc_lo, s12, v8
	v_cmp_gt_i32_e64 s2, s13, v9
	s_and_b32 s2, vcc_lo, s2
	s_delay_alu instid0(SALU_CYCLE_1)
	s_and_saveexec_b32 s4, s2
	s_cbranch_execz .LBB24_6
; %bb.1:
	s_clause 0x1
	s_load_b64 s[18:19], s[0:1], 0x88
	s_load_b256 s[4:11], s[0:1], 0x68
	s_bfe_u32 s2, ttmp6, 0x40014
	s_lshr_b32 s12, ttmp7, 16
	s_add_co_i32 s2, s2, 1
	s_bfe_u32 s13, ttmp6, 0x40008
	s_mul_i32 s2, s12, s2
	s_delay_alu instid0(SALU_CYCLE_1)
	s_add_co_i32 s13, s13, s2
	s_cmp_eq_u32 s3, 0
	s_cselect_b32 s16, s12, s13
	s_cmp_lt_i32 s14, 1
	s_cbranch_scc1 .LBB24_4
; %bb.2:
	s_clause 0x5
	s_load_b128 s[20:23], s[0:1], 0x28
	s_load_b32 s15, s[0:1], 0x20
	s_load_b64 s[12:13], s[0:1], 0x60
	s_load_b64 s[2:3], s[0:1], 0x38
	s_load_b32 s28, s[0:1], 0x48
	s_load_b128 s[24:27], s[0:1], 0x50
	s_wait_kmcnt 0x0
	s_mul_u64 s[4:5], s[4:5], s[16:17]
	s_load_b64 s[20:21], s[20:21], s16 offset:0x0 scale_offset
	s_bitcmp1_b32 s15, 0
	v_mul_lo_u32 v0, v9, s13
	v_mul_lo_u32 v2, v8, s2
	s_cselect_b32 vcc_lo, -1, 0
	s_bitcmp1_b32 s28, 0
	s_cselect_b32 s2, -1, 0
	s_lshl_b64 s[4:5], s[4:5], 4
	s_lshl_b64 s[26:27], s[26:27], 4
	;; [unrolled: 1-line block ×3, first 2 shown]
	s_add_nc_u64 s[4:5], s[4:5], s[26:27]
	s_ashr_i32 s13, s12, 31
	s_delay_alu instid0(VALU_DEP_1) | instskip(SKIP_2) | instid1(VALU_DEP_1)
	v_dual_ashrrev_i32 v1, 31, v0 :: v_dual_ashrrev_i32 v3, 31, v2
	s_add_nc_u64 s[4:5], s[24:25], s[4:5]
	s_lshl_b64 s[12:13], s[12:13], 4
	v_lshl_add_u64 v[4:5], v[0:1], 4, s[4:5]
	v_mov_b64_e32 v[0:1], 0
	s_wait_kmcnt 0x0
	s_add_nc_u64 s[20:21], s[20:21], s[22:23]
	s_ashr_i32 s5, s3, 31
	v_lshl_add_u64 v[2:3], v[2:3], 4, s[20:21]
	v_add_nc_u64_e32 v[4:5], 8, v[4:5]
	s_mov_b32 s4, s3
	s_delay_alu instid0(SALU_CYCLE_1) | instskip(NEXT) | instid1(VALU_DEP_2)
	s_lshl_b64 s[4:5], s[4:5], 4
	v_add_nc_u64_e32 v[6:7], 8, v[2:3]
	v_mov_b64_e32 v[2:3], 0
.LBB24_3:                               ; =>This Inner Loop Header: Depth=1
	flat_load_b128 v[10:13], v[6:7] offset:-8
	global_load_b128 v[14:17], v[4:5], off offset:-8
	s_wait_xcnt 0x1
	v_add_nc_u64_e32 v[6:7], s[4:5], v[6:7]
	s_wait_xcnt 0x0
	v_add_nc_u64_e32 v[4:5], s[12:13], v[4:5]
	s_add_co_i32 s14, s14, -1
	s_delay_alu instid0(SALU_CYCLE_1) | instskip(SKIP_4) | instid1(VALU_DEP_2)
	s_cmp_eq_u32 s14, 0
	s_wait_loadcnt_dscnt 0x100
	v_xor_b32_e32 v18, 0x80000000, v13
	s_wait_loadcnt 0x0
	v_xor_b32_e32 v19, 0x80000000, v17
	v_cndmask_b32_e32 v13, v13, v18, vcc_lo
	s_delay_alu instid0(VALU_DEP_2) | instskip(NEXT) | instid1(VALU_DEP_1)
	v_cndmask_b32_e64 v17, v17, v19, s2
	v_mul_f64_e32 v[18:19], v[12:13], v[16:17]
	v_mul_f64_e32 v[12:13], v[12:13], v[14:15]
	s_delay_alu instid0(VALU_DEP_2) | instskip(NEXT) | instid1(VALU_DEP_2)
	v_fma_f64 v[14:15], v[10:11], v[14:15], -v[18:19]
	v_fmac_f64_e32 v[12:13], v[10:11], v[16:17]
	s_delay_alu instid0(VALU_DEP_2) | instskip(NEXT) | instid1(VALU_DEP_2)
	v_add_f64_e32 v[2:3], v[2:3], v[14:15]
	v_add_f64_e32 v[0:1], v[0:1], v[12:13]
	s_cbranch_scc0 .LBB24_3
	s_branch .LBB24_5
.LBB24_4:
	v_mov_b64_e32 v[0:1], 0
	v_mov_b64_e32 v[2:3], 0
.LBB24_5:
	s_load_b128 s[12:15], s[0:1], 0x10
	s_wait_xcnt 0x0
	s_load_b128 s[0:3], s[0:1], 0x90
	s_wait_kmcnt 0x0
	s_delay_alu instid0(VALU_DEP_1) | instskip(SKIP_1) | instid1(VALU_DEP_1)
	v_mul_f64_e32 v[10:11], s[12:13], v[0:1]
	v_mul_lo_u32 v4, v8, s0
	v_mad_u32 v12, v9, s1, v4
	s_mul_u64 s[0:1], s[2:3], s[16:17]
	s_lshl_b64 s[2:3], s[18:19], 4
	s_lshl_b64 s[0:1], s[0:1], 4
	v_mul_f64_e32 v[8:9], s[14:15], v[0:1]
	s_add_nc_u64 s[0:1], s[10:11], s[0:1]
	s_delay_alu instid0(SALU_CYCLE_1)
	s_add_nc_u64 s[0:1], s[0:1], s[2:3]
	global_load_b128 v[4:7], v12, s[0:1] scale_offset
	v_fmac_f64_e32 v[10:11], s[14:15], v[2:3]
	v_fma_f64 v[8:9], s[12:13], v[2:3], -v[8:9]
	s_wait_loadcnt 0x0
	v_mul_f64_e32 v[0:1], s[8:9], v[6:7]
	v_mul_f64_e32 v[6:7], s[6:7], v[6:7]
	s_delay_alu instid0(VALU_DEP_2) | instskip(NEXT) | instid1(VALU_DEP_2)
	v_fma_f64 v[0:1], s[6:7], v[4:5], -v[0:1]
	v_fmac_f64_e32 v[6:7], s[8:9], v[4:5]
	s_delay_alu instid0(VALU_DEP_2) | instskip(NEXT) | instid1(VALU_DEP_2)
	v_add_f64_e32 v[0:1], v[8:9], v[0:1]
	v_add_f64_e32 v[2:3], v[10:11], v[6:7]
	global_store_b128 v12, v[0:3], s[0:1] scale_offset
.LBB24_6:
	s_endpgm
	.section	.rodata,"a",@progbits
	.p2align	6, 0x0
	.amdhsa_kernel _ZN9rocsolver6v33100L11gemm_kernelI19rocblas_complex_numIdEiS3_PKPS3_S4_S4_EEvT0_S7_S7_T1_bT2_lS7_S7_lbT3_lS7_S7_lS8_T4_lS7_S7_l
		.amdhsa_group_segment_fixed_size 0
		.amdhsa_private_segment_fixed_size 0
		.amdhsa_kernarg_size 416
		.amdhsa_user_sgpr_count 2
		.amdhsa_user_sgpr_dispatch_ptr 0
		.amdhsa_user_sgpr_queue_ptr 0
		.amdhsa_user_sgpr_kernarg_segment_ptr 1
		.amdhsa_user_sgpr_dispatch_id 0
		.amdhsa_user_sgpr_kernarg_preload_length 0
		.amdhsa_user_sgpr_kernarg_preload_offset 0
		.amdhsa_user_sgpr_private_segment_size 0
		.amdhsa_wavefront_size32 1
		.amdhsa_uses_dynamic_stack 0
		.amdhsa_enable_private_segment 0
		.amdhsa_system_sgpr_workgroup_id_x 1
		.amdhsa_system_sgpr_workgroup_id_y 1
		.amdhsa_system_sgpr_workgroup_id_z 1
		.amdhsa_system_sgpr_workgroup_info 0
		.amdhsa_system_vgpr_workitem_id 1
		.amdhsa_next_free_vgpr 20
		.amdhsa_next_free_sgpr 29
		.amdhsa_named_barrier_count 0
		.amdhsa_reserve_vcc 1
		.amdhsa_float_round_mode_32 0
		.amdhsa_float_round_mode_16_64 0
		.amdhsa_float_denorm_mode_32 3
		.amdhsa_float_denorm_mode_16_64 3
		.amdhsa_fp16_overflow 0
		.amdhsa_memory_ordered 1
		.amdhsa_forward_progress 1
		.amdhsa_inst_pref_size 6
		.amdhsa_round_robin_scheduling 0
		.amdhsa_exception_fp_ieee_invalid_op 0
		.amdhsa_exception_fp_denorm_src 0
		.amdhsa_exception_fp_ieee_div_zero 0
		.amdhsa_exception_fp_ieee_overflow 0
		.amdhsa_exception_fp_ieee_underflow 0
		.amdhsa_exception_fp_ieee_inexact 0
		.amdhsa_exception_int_div_zero 0
	.end_amdhsa_kernel
	.section	.text._ZN9rocsolver6v33100L11gemm_kernelI19rocblas_complex_numIdEiS3_PKPS3_S4_S4_EEvT0_S7_S7_T1_bT2_lS7_S7_lbT3_lS7_S7_lS8_T4_lS7_S7_l,"axG",@progbits,_ZN9rocsolver6v33100L11gemm_kernelI19rocblas_complex_numIdEiS3_PKPS3_S4_S4_EEvT0_S7_S7_T1_bT2_lS7_S7_lbT3_lS7_S7_lS8_T4_lS7_S7_l,comdat
.Lfunc_end24:
	.size	_ZN9rocsolver6v33100L11gemm_kernelI19rocblas_complex_numIdEiS3_PKPS3_S4_S4_EEvT0_S7_S7_T1_bT2_lS7_S7_lbT3_lS7_S7_lS8_T4_lS7_S7_l, .Lfunc_end24-_ZN9rocsolver6v33100L11gemm_kernelI19rocblas_complex_numIdEiS3_PKPS3_S4_S4_EEvT0_S7_S7_T1_bT2_lS7_S7_lbT3_lS7_S7_lS8_T4_lS7_S7_l
                                        ; -- End function
	.set _ZN9rocsolver6v33100L11gemm_kernelI19rocblas_complex_numIdEiS3_PKPS3_S4_S4_EEvT0_S7_S7_T1_bT2_lS7_S7_lbT3_lS7_S7_lS8_T4_lS7_S7_l.num_vgpr, 20
	.set _ZN9rocsolver6v33100L11gemm_kernelI19rocblas_complex_numIdEiS3_PKPS3_S4_S4_EEvT0_S7_S7_T1_bT2_lS7_S7_lbT3_lS7_S7_lS8_T4_lS7_S7_l.num_agpr, 0
	.set _ZN9rocsolver6v33100L11gemm_kernelI19rocblas_complex_numIdEiS3_PKPS3_S4_S4_EEvT0_S7_S7_T1_bT2_lS7_S7_lbT3_lS7_S7_lS8_T4_lS7_S7_l.numbered_sgpr, 29
	.set _ZN9rocsolver6v33100L11gemm_kernelI19rocblas_complex_numIdEiS3_PKPS3_S4_S4_EEvT0_S7_S7_T1_bT2_lS7_S7_lbT3_lS7_S7_lS8_T4_lS7_S7_l.num_named_barrier, 0
	.set _ZN9rocsolver6v33100L11gemm_kernelI19rocblas_complex_numIdEiS3_PKPS3_S4_S4_EEvT0_S7_S7_T1_bT2_lS7_S7_lbT3_lS7_S7_lS8_T4_lS7_S7_l.private_seg_size, 0
	.set _ZN9rocsolver6v33100L11gemm_kernelI19rocblas_complex_numIdEiS3_PKPS3_S4_S4_EEvT0_S7_S7_T1_bT2_lS7_S7_lbT3_lS7_S7_lS8_T4_lS7_S7_l.uses_vcc, 1
	.set _ZN9rocsolver6v33100L11gemm_kernelI19rocblas_complex_numIdEiS3_PKPS3_S4_S4_EEvT0_S7_S7_T1_bT2_lS7_S7_lbT3_lS7_S7_lS8_T4_lS7_S7_l.uses_flat_scratch, 0
	.set _ZN9rocsolver6v33100L11gemm_kernelI19rocblas_complex_numIdEiS3_PKPS3_S4_S4_EEvT0_S7_S7_T1_bT2_lS7_S7_lbT3_lS7_S7_lS8_T4_lS7_S7_l.has_dyn_sized_stack, 0
	.set _ZN9rocsolver6v33100L11gemm_kernelI19rocblas_complex_numIdEiS3_PKPS3_S4_S4_EEvT0_S7_S7_T1_bT2_lS7_S7_lbT3_lS7_S7_lS8_T4_lS7_S7_l.has_recursion, 0
	.set _ZN9rocsolver6v33100L11gemm_kernelI19rocblas_complex_numIdEiS3_PKPS3_S4_S4_EEvT0_S7_S7_T1_bT2_lS7_S7_lbT3_lS7_S7_lS8_T4_lS7_S7_l.has_indirect_call, 0
	.section	.AMDGPU.csdata,"",@progbits
; Kernel info:
; codeLenInByte = 752
; TotalNumSgprs: 31
; NumVgprs: 20
; ScratchSize: 0
; MemoryBound: 0
; FloatMode: 240
; IeeeMode: 1
; LDSByteSize: 0 bytes/workgroup (compile time only)
; SGPRBlocks: 0
; VGPRBlocks: 1
; NumSGPRsForWavesPerEU: 31
; NumVGPRsForWavesPerEU: 20
; NamedBarCnt: 0
; Occupancy: 16
; WaveLimiterHint : 1
; COMPUTE_PGM_RSRC2:SCRATCH_EN: 0
; COMPUTE_PGM_RSRC2:USER_SGPR: 2
; COMPUTE_PGM_RSRC2:TRAP_HANDLER: 0
; COMPUTE_PGM_RSRC2:TGID_X_EN: 1
; COMPUTE_PGM_RSRC2:TGID_Y_EN: 1
; COMPUTE_PGM_RSRC2:TGID_Z_EN: 1
; COMPUTE_PGM_RSRC2:TIDIG_COMP_CNT: 1
	.section	.text._ZN9rocsolver6v33100L16mfma_gemm_kernelI19rocblas_complex_numIdEiPKS3_PS3_PKS6_S6_EEv18rocblas_operation_S9_T0_SA_SA_T1_T2_lSA_SA_lT3_lSA_SA_lSB_T4_lSA_SA_l,"axG",@progbits,_ZN9rocsolver6v33100L16mfma_gemm_kernelI19rocblas_complex_numIdEiPKS3_PS3_PKS6_S6_EEv18rocblas_operation_S9_T0_SA_SA_T1_T2_lSA_SA_lT3_lSA_SA_lSB_T4_lSA_SA_l,comdat
	.globl	_ZN9rocsolver6v33100L16mfma_gemm_kernelI19rocblas_complex_numIdEiPKS3_PS3_PKS6_S6_EEv18rocblas_operation_S9_T0_SA_SA_T1_T2_lSA_SA_lT3_lSA_SA_lSB_T4_lSA_SA_l ; -- Begin function _ZN9rocsolver6v33100L16mfma_gemm_kernelI19rocblas_complex_numIdEiPKS3_PS3_PKS6_S6_EEv18rocblas_operation_S9_T0_SA_SA_T1_T2_lSA_SA_lT3_lSA_SA_lSB_T4_lSA_SA_l
	.p2align	8
	.type	_ZN9rocsolver6v33100L16mfma_gemm_kernelI19rocblas_complex_numIdEiPKS3_PS3_PKS6_S6_EEv18rocblas_operation_S9_T0_SA_SA_T1_T2_lSA_SA_lT3_lSA_SA_lSB_T4_lSA_SA_l,@function
_ZN9rocsolver6v33100L16mfma_gemm_kernelI19rocblas_complex_numIdEiPKS3_PS3_PKS6_S6_EEv18rocblas_operation_S9_T0_SA_SA_T1_T2_lSA_SA_lT3_lSA_SA_lSB_T4_lSA_SA_l: ; @_ZN9rocsolver6v33100L16mfma_gemm_kernelI19rocblas_complex_numIdEiPKS3_PS3_PKS6_S6_EEv18rocblas_operation_S9_T0_SA_SA_T1_T2_lSA_SA_lT3_lSA_SA_lSB_T4_lSA_SA_l
; %bb.0:
	s_endpgm
	.section	.rodata,"a",@progbits
	.p2align	6, 0x0
	.amdhsa_kernel _ZN9rocsolver6v33100L16mfma_gemm_kernelI19rocblas_complex_numIdEiPKS3_PS3_PKS6_S6_EEv18rocblas_operation_S9_T0_SA_SA_T1_T2_lSA_SA_lT3_lSA_SA_lSB_T4_lSA_SA_l
		.amdhsa_group_segment_fixed_size 0
		.amdhsa_private_segment_fixed_size 0
		.amdhsa_kernarg_size 136
		.amdhsa_user_sgpr_count 2
		.amdhsa_user_sgpr_dispatch_ptr 0
		.amdhsa_user_sgpr_queue_ptr 0
		.amdhsa_user_sgpr_kernarg_segment_ptr 1
		.amdhsa_user_sgpr_dispatch_id 0
		.amdhsa_user_sgpr_kernarg_preload_length 0
		.amdhsa_user_sgpr_kernarg_preload_offset 0
		.amdhsa_user_sgpr_private_segment_size 0
		.amdhsa_wavefront_size32 1
		.amdhsa_uses_dynamic_stack 0
		.amdhsa_enable_private_segment 0
		.amdhsa_system_sgpr_workgroup_id_x 1
		.amdhsa_system_sgpr_workgroup_id_y 0
		.amdhsa_system_sgpr_workgroup_id_z 0
		.amdhsa_system_sgpr_workgroup_info 0
		.amdhsa_system_vgpr_workitem_id 0
		.amdhsa_next_free_vgpr 1
		.amdhsa_next_free_sgpr 1
		.amdhsa_named_barrier_count 0
		.amdhsa_reserve_vcc 0
		.amdhsa_float_round_mode_32 0
		.amdhsa_float_round_mode_16_64 0
		.amdhsa_float_denorm_mode_32 3
		.amdhsa_float_denorm_mode_16_64 3
		.amdhsa_fp16_overflow 0
		.amdhsa_memory_ordered 1
		.amdhsa_forward_progress 1
		.amdhsa_inst_pref_size 1
		.amdhsa_round_robin_scheduling 0
		.amdhsa_exception_fp_ieee_invalid_op 0
		.amdhsa_exception_fp_denorm_src 0
		.amdhsa_exception_fp_ieee_div_zero 0
		.amdhsa_exception_fp_ieee_overflow 0
		.amdhsa_exception_fp_ieee_underflow 0
		.amdhsa_exception_fp_ieee_inexact 0
		.amdhsa_exception_int_div_zero 0
	.end_amdhsa_kernel
	.section	.text._ZN9rocsolver6v33100L16mfma_gemm_kernelI19rocblas_complex_numIdEiPKS3_PS3_PKS6_S6_EEv18rocblas_operation_S9_T0_SA_SA_T1_T2_lSA_SA_lT3_lSA_SA_lSB_T4_lSA_SA_l,"axG",@progbits,_ZN9rocsolver6v33100L16mfma_gemm_kernelI19rocblas_complex_numIdEiPKS3_PS3_PKS6_S6_EEv18rocblas_operation_S9_T0_SA_SA_T1_T2_lSA_SA_lT3_lSA_SA_lSB_T4_lSA_SA_l,comdat
.Lfunc_end25:
	.size	_ZN9rocsolver6v33100L16mfma_gemm_kernelI19rocblas_complex_numIdEiPKS3_PS3_PKS6_S6_EEv18rocblas_operation_S9_T0_SA_SA_T1_T2_lSA_SA_lT3_lSA_SA_lSB_T4_lSA_SA_l, .Lfunc_end25-_ZN9rocsolver6v33100L16mfma_gemm_kernelI19rocblas_complex_numIdEiPKS3_PS3_PKS6_S6_EEv18rocblas_operation_S9_T0_SA_SA_T1_T2_lSA_SA_lT3_lSA_SA_lSB_T4_lSA_SA_l
                                        ; -- End function
	.set _ZN9rocsolver6v33100L16mfma_gemm_kernelI19rocblas_complex_numIdEiPKS3_PS3_PKS6_S6_EEv18rocblas_operation_S9_T0_SA_SA_T1_T2_lSA_SA_lT3_lSA_SA_lSB_T4_lSA_SA_l.num_vgpr, 0
	.set _ZN9rocsolver6v33100L16mfma_gemm_kernelI19rocblas_complex_numIdEiPKS3_PS3_PKS6_S6_EEv18rocblas_operation_S9_T0_SA_SA_T1_T2_lSA_SA_lT3_lSA_SA_lSB_T4_lSA_SA_l.num_agpr, 0
	.set _ZN9rocsolver6v33100L16mfma_gemm_kernelI19rocblas_complex_numIdEiPKS3_PS3_PKS6_S6_EEv18rocblas_operation_S9_T0_SA_SA_T1_T2_lSA_SA_lT3_lSA_SA_lSB_T4_lSA_SA_l.numbered_sgpr, 0
	.set _ZN9rocsolver6v33100L16mfma_gemm_kernelI19rocblas_complex_numIdEiPKS3_PS3_PKS6_S6_EEv18rocblas_operation_S9_T0_SA_SA_T1_T2_lSA_SA_lT3_lSA_SA_lSB_T4_lSA_SA_l.num_named_barrier, 0
	.set _ZN9rocsolver6v33100L16mfma_gemm_kernelI19rocblas_complex_numIdEiPKS3_PS3_PKS6_S6_EEv18rocblas_operation_S9_T0_SA_SA_T1_T2_lSA_SA_lT3_lSA_SA_lSB_T4_lSA_SA_l.private_seg_size, 0
	.set _ZN9rocsolver6v33100L16mfma_gemm_kernelI19rocblas_complex_numIdEiPKS3_PS3_PKS6_S6_EEv18rocblas_operation_S9_T0_SA_SA_T1_T2_lSA_SA_lT3_lSA_SA_lSB_T4_lSA_SA_l.uses_vcc, 0
	.set _ZN9rocsolver6v33100L16mfma_gemm_kernelI19rocblas_complex_numIdEiPKS3_PS3_PKS6_S6_EEv18rocblas_operation_S9_T0_SA_SA_T1_T2_lSA_SA_lT3_lSA_SA_lSB_T4_lSA_SA_l.uses_flat_scratch, 0
	.set _ZN9rocsolver6v33100L16mfma_gemm_kernelI19rocblas_complex_numIdEiPKS3_PS3_PKS6_S6_EEv18rocblas_operation_S9_T0_SA_SA_T1_T2_lSA_SA_lT3_lSA_SA_lSB_T4_lSA_SA_l.has_dyn_sized_stack, 0
	.set _ZN9rocsolver6v33100L16mfma_gemm_kernelI19rocblas_complex_numIdEiPKS3_PS3_PKS6_S6_EEv18rocblas_operation_S9_T0_SA_SA_T1_T2_lSA_SA_lT3_lSA_SA_lSB_T4_lSA_SA_l.has_recursion, 0
	.set _ZN9rocsolver6v33100L16mfma_gemm_kernelI19rocblas_complex_numIdEiPKS3_PS3_PKS6_S6_EEv18rocblas_operation_S9_T0_SA_SA_T1_T2_lSA_SA_lT3_lSA_SA_lSB_T4_lSA_SA_l.has_indirect_call, 0
	.section	.AMDGPU.csdata,"",@progbits
; Kernel info:
; codeLenInByte = 4
; TotalNumSgprs: 0
; NumVgprs: 0
; ScratchSize: 0
; MemoryBound: 0
; FloatMode: 240
; IeeeMode: 1
; LDSByteSize: 0 bytes/workgroup (compile time only)
; SGPRBlocks: 0
; VGPRBlocks: 0
; NumSGPRsForWavesPerEU: 1
; NumVGPRsForWavesPerEU: 1
; NamedBarCnt: 0
; Occupancy: 16
; WaveLimiterHint : 0
; COMPUTE_PGM_RSRC2:SCRATCH_EN: 0
; COMPUTE_PGM_RSRC2:USER_SGPR: 2
; COMPUTE_PGM_RSRC2:TRAP_HANDLER: 0
; COMPUTE_PGM_RSRC2:TGID_X_EN: 1
; COMPUTE_PGM_RSRC2:TGID_Y_EN: 0
; COMPUTE_PGM_RSRC2:TGID_Z_EN: 0
; COMPUTE_PGM_RSRC2:TIDIG_COMP_CNT: 0
	.section	.text._ZN9rocsolver6v33100L16mfma_gemm_kernelI19rocblas_complex_numIdEiS3_PS3_PKS4_S4_EEv18rocblas_operation_S7_T0_S8_S8_T1_T2_lS8_S8_lT3_lS8_S8_lS9_T4_lS8_S8_l,"axG",@progbits,_ZN9rocsolver6v33100L16mfma_gemm_kernelI19rocblas_complex_numIdEiS3_PS3_PKS4_S4_EEv18rocblas_operation_S7_T0_S8_S8_T1_T2_lS8_S8_lT3_lS8_S8_lS9_T4_lS8_S8_l,comdat
	.globl	_ZN9rocsolver6v33100L16mfma_gemm_kernelI19rocblas_complex_numIdEiS3_PS3_PKS4_S4_EEv18rocblas_operation_S7_T0_S8_S8_T1_T2_lS8_S8_lT3_lS8_S8_lS9_T4_lS8_S8_l ; -- Begin function _ZN9rocsolver6v33100L16mfma_gemm_kernelI19rocblas_complex_numIdEiS3_PS3_PKS4_S4_EEv18rocblas_operation_S7_T0_S8_S8_T1_T2_lS8_S8_lT3_lS8_S8_lS9_T4_lS8_S8_l
	.p2align	8
	.type	_ZN9rocsolver6v33100L16mfma_gemm_kernelI19rocblas_complex_numIdEiS3_PS3_PKS4_S4_EEv18rocblas_operation_S7_T0_S8_S8_T1_T2_lS8_S8_lT3_lS8_S8_lS9_T4_lS8_S8_l,@function
_ZN9rocsolver6v33100L16mfma_gemm_kernelI19rocblas_complex_numIdEiS3_PS3_PKS4_S4_EEv18rocblas_operation_S7_T0_S8_S8_T1_T2_lS8_S8_lT3_lS8_S8_lS9_T4_lS8_S8_l: ; @_ZN9rocsolver6v33100L16mfma_gemm_kernelI19rocblas_complex_numIdEiS3_PS3_PKS4_S4_EEv18rocblas_operation_S7_T0_S8_S8_T1_T2_lS8_S8_lT3_lS8_S8_lS9_T4_lS8_S8_l
; %bb.0:
	s_endpgm
	.section	.rodata,"a",@progbits
	.p2align	6, 0x0
	.amdhsa_kernel _ZN9rocsolver6v33100L16mfma_gemm_kernelI19rocblas_complex_numIdEiS3_PS3_PKS4_S4_EEv18rocblas_operation_S7_T0_S8_S8_T1_T2_lS8_S8_lT3_lS8_S8_lS9_T4_lS8_S8_l
		.amdhsa_group_segment_fixed_size 0
		.amdhsa_private_segment_fixed_size 0
		.amdhsa_kernarg_size 152
		.amdhsa_user_sgpr_count 2
		.amdhsa_user_sgpr_dispatch_ptr 0
		.amdhsa_user_sgpr_queue_ptr 0
		.amdhsa_user_sgpr_kernarg_segment_ptr 1
		.amdhsa_user_sgpr_dispatch_id 0
		.amdhsa_user_sgpr_kernarg_preload_length 0
		.amdhsa_user_sgpr_kernarg_preload_offset 0
		.amdhsa_user_sgpr_private_segment_size 0
		.amdhsa_wavefront_size32 1
		.amdhsa_uses_dynamic_stack 0
		.amdhsa_enable_private_segment 0
		.amdhsa_system_sgpr_workgroup_id_x 1
		.amdhsa_system_sgpr_workgroup_id_y 0
		.amdhsa_system_sgpr_workgroup_id_z 0
		.amdhsa_system_sgpr_workgroup_info 0
		.amdhsa_system_vgpr_workitem_id 0
		.amdhsa_next_free_vgpr 1
		.amdhsa_next_free_sgpr 1
		.amdhsa_named_barrier_count 0
		.amdhsa_reserve_vcc 0
		.amdhsa_float_round_mode_32 0
		.amdhsa_float_round_mode_16_64 0
		.amdhsa_float_denorm_mode_32 3
		.amdhsa_float_denorm_mode_16_64 3
		.amdhsa_fp16_overflow 0
		.amdhsa_memory_ordered 1
		.amdhsa_forward_progress 1
		.amdhsa_inst_pref_size 1
		.amdhsa_round_robin_scheduling 0
		.amdhsa_exception_fp_ieee_invalid_op 0
		.amdhsa_exception_fp_denorm_src 0
		.amdhsa_exception_fp_ieee_div_zero 0
		.amdhsa_exception_fp_ieee_overflow 0
		.amdhsa_exception_fp_ieee_underflow 0
		.amdhsa_exception_fp_ieee_inexact 0
		.amdhsa_exception_int_div_zero 0
	.end_amdhsa_kernel
	.section	.text._ZN9rocsolver6v33100L16mfma_gemm_kernelI19rocblas_complex_numIdEiS3_PS3_PKS4_S4_EEv18rocblas_operation_S7_T0_S8_S8_T1_T2_lS8_S8_lT3_lS8_S8_lS9_T4_lS8_S8_l,"axG",@progbits,_ZN9rocsolver6v33100L16mfma_gemm_kernelI19rocblas_complex_numIdEiS3_PS3_PKS4_S4_EEv18rocblas_operation_S7_T0_S8_S8_T1_T2_lS8_S8_lT3_lS8_S8_lS9_T4_lS8_S8_l,comdat
.Lfunc_end26:
	.size	_ZN9rocsolver6v33100L16mfma_gemm_kernelI19rocblas_complex_numIdEiS3_PS3_PKS4_S4_EEv18rocblas_operation_S7_T0_S8_S8_T1_T2_lS8_S8_lT3_lS8_S8_lS9_T4_lS8_S8_l, .Lfunc_end26-_ZN9rocsolver6v33100L16mfma_gemm_kernelI19rocblas_complex_numIdEiS3_PS3_PKS4_S4_EEv18rocblas_operation_S7_T0_S8_S8_T1_T2_lS8_S8_lT3_lS8_S8_lS9_T4_lS8_S8_l
                                        ; -- End function
	.set _ZN9rocsolver6v33100L16mfma_gemm_kernelI19rocblas_complex_numIdEiS3_PS3_PKS4_S4_EEv18rocblas_operation_S7_T0_S8_S8_T1_T2_lS8_S8_lT3_lS8_S8_lS9_T4_lS8_S8_l.num_vgpr, 0
	.set _ZN9rocsolver6v33100L16mfma_gemm_kernelI19rocblas_complex_numIdEiS3_PS3_PKS4_S4_EEv18rocblas_operation_S7_T0_S8_S8_T1_T2_lS8_S8_lT3_lS8_S8_lS9_T4_lS8_S8_l.num_agpr, 0
	.set _ZN9rocsolver6v33100L16mfma_gemm_kernelI19rocblas_complex_numIdEiS3_PS3_PKS4_S4_EEv18rocblas_operation_S7_T0_S8_S8_T1_T2_lS8_S8_lT3_lS8_S8_lS9_T4_lS8_S8_l.numbered_sgpr, 0
	.set _ZN9rocsolver6v33100L16mfma_gemm_kernelI19rocblas_complex_numIdEiS3_PS3_PKS4_S4_EEv18rocblas_operation_S7_T0_S8_S8_T1_T2_lS8_S8_lT3_lS8_S8_lS9_T4_lS8_S8_l.num_named_barrier, 0
	.set _ZN9rocsolver6v33100L16mfma_gemm_kernelI19rocblas_complex_numIdEiS3_PS3_PKS4_S4_EEv18rocblas_operation_S7_T0_S8_S8_T1_T2_lS8_S8_lT3_lS8_S8_lS9_T4_lS8_S8_l.private_seg_size, 0
	.set _ZN9rocsolver6v33100L16mfma_gemm_kernelI19rocblas_complex_numIdEiS3_PS3_PKS4_S4_EEv18rocblas_operation_S7_T0_S8_S8_T1_T2_lS8_S8_lT3_lS8_S8_lS9_T4_lS8_S8_l.uses_vcc, 0
	.set _ZN9rocsolver6v33100L16mfma_gemm_kernelI19rocblas_complex_numIdEiS3_PS3_PKS4_S4_EEv18rocblas_operation_S7_T0_S8_S8_T1_T2_lS8_S8_lT3_lS8_S8_lS9_T4_lS8_S8_l.uses_flat_scratch, 0
	.set _ZN9rocsolver6v33100L16mfma_gemm_kernelI19rocblas_complex_numIdEiS3_PS3_PKS4_S4_EEv18rocblas_operation_S7_T0_S8_S8_T1_T2_lS8_S8_lT3_lS8_S8_lS9_T4_lS8_S8_l.has_dyn_sized_stack, 0
	.set _ZN9rocsolver6v33100L16mfma_gemm_kernelI19rocblas_complex_numIdEiS3_PS3_PKS4_S4_EEv18rocblas_operation_S7_T0_S8_S8_T1_T2_lS8_S8_lT3_lS8_S8_lS9_T4_lS8_S8_l.has_recursion, 0
	.set _ZN9rocsolver6v33100L16mfma_gemm_kernelI19rocblas_complex_numIdEiS3_PS3_PKS4_S4_EEv18rocblas_operation_S7_T0_S8_S8_T1_T2_lS8_S8_lT3_lS8_S8_lS9_T4_lS8_S8_l.has_indirect_call, 0
	.section	.AMDGPU.csdata,"",@progbits
; Kernel info:
; codeLenInByte = 4
; TotalNumSgprs: 0
; NumVgprs: 0
; ScratchSize: 0
; MemoryBound: 0
; FloatMode: 240
; IeeeMode: 1
; LDSByteSize: 0 bytes/workgroup (compile time only)
; SGPRBlocks: 0
; VGPRBlocks: 0
; NumSGPRsForWavesPerEU: 1
; NumVGPRsForWavesPerEU: 1
; NamedBarCnt: 0
; Occupancy: 16
; WaveLimiterHint : 0
; COMPUTE_PGM_RSRC2:SCRATCH_EN: 0
; COMPUTE_PGM_RSRC2:USER_SGPR: 2
; COMPUTE_PGM_RSRC2:TRAP_HANDLER: 0
; COMPUTE_PGM_RSRC2:TGID_X_EN: 1
; COMPUTE_PGM_RSRC2:TGID_Y_EN: 0
; COMPUTE_PGM_RSRC2:TGID_Z_EN: 0
; COMPUTE_PGM_RSRC2:TIDIG_COMP_CNT: 0
	.section	.text._ZN9rocsolver6v33100L11gemm_kernelI19rocblas_complex_numIdEiPKS3_PS3_PKS6_S6_EEvT0_S9_S9_T1_bT2_lS9_S9_lbT3_lS9_S9_lSA_T4_lS9_S9_l,"axG",@progbits,_ZN9rocsolver6v33100L11gemm_kernelI19rocblas_complex_numIdEiPKS3_PS3_PKS6_S6_EEvT0_S9_S9_T1_bT2_lS9_S9_lbT3_lS9_S9_lSA_T4_lS9_S9_l,comdat
	.globl	_ZN9rocsolver6v33100L11gemm_kernelI19rocblas_complex_numIdEiPKS3_PS3_PKS6_S6_EEvT0_S9_S9_T1_bT2_lS9_S9_lbT3_lS9_S9_lSA_T4_lS9_S9_l ; -- Begin function _ZN9rocsolver6v33100L11gemm_kernelI19rocblas_complex_numIdEiPKS3_PS3_PKS6_S6_EEvT0_S9_S9_T1_bT2_lS9_S9_lbT3_lS9_S9_lSA_T4_lS9_S9_l
	.p2align	8
	.type	_ZN9rocsolver6v33100L11gemm_kernelI19rocblas_complex_numIdEiPKS3_PS3_PKS6_S6_EEvT0_S9_S9_T1_bT2_lS9_S9_lbT3_lS9_S9_lSA_T4_lS9_S9_l,@function
_ZN9rocsolver6v33100L11gemm_kernelI19rocblas_complex_numIdEiPKS3_PS3_PKS6_S6_EEvT0_S9_S9_T1_bT2_lS9_S9_lbT3_lS9_S9_lSA_T4_lS9_S9_l: ; @_ZN9rocsolver6v33100L11gemm_kernelI19rocblas_complex_numIdEiPKS3_PS3_PKS6_S6_EEvT0_S9_S9_T1_bT2_lS9_S9_lbT3_lS9_S9_lSA_T4_lS9_S9_l
; %bb.0:
	s_clause 0x1
	s_load_b32 s2, s[0:1], 0x9c
	s_load_b96 s[16:18], s[0:1], 0x0
	s_bfe_u32 s5, ttmp6, 0x40010
	s_bfe_u32 s8, ttmp6, 0x4000c
	s_and_b32 s4, ttmp7, 0xffff
	s_add_co_i32 s5, s5, 1
	s_add_co_i32 s8, s8, 1
	s_bfe_u32 s6, ttmp6, 0x40004
	s_and_b32 s7, ttmp6, 15
	s_mul_i32 s5, s4, s5
	s_mul_i32 s8, ttmp9, s8
	s_getreg_b32 s3, hwreg(HW_REG_IB_STS2, 6, 4)
	v_and_b32_e32 v1, 0x3ff, v0
	v_bfe_u32 v0, v0, 10, 10
	s_add_co_i32 s6, s6, s5
	s_add_co_i32 s7, s7, s8
	s_wait_kmcnt 0x0
	s_lshr_b32 s5, s2, 16
	s_and_b32 s2, s2, 0xffff
	s_cmp_eq_u32 s3, 0
	s_cselect_b32 s7, ttmp9, s7
	s_cselect_b32 s4, s4, s6
	v_mad_u32 v8, s7, s2, v1
	v_mad_u32 v9, s4, s5, v0
	s_delay_alu instid0(VALU_DEP_2) | instskip(NEXT) | instid1(VALU_DEP_2)
	v_cmp_gt_i32_e32 vcc_lo, s16, v8
	v_cmp_gt_i32_e64 s2, s17, v9
	s_mov_b32 s17, 0
	s_and_b32 s2, vcc_lo, s2
	s_delay_alu instid0(SALU_CYCLE_1)
	s_and_saveexec_b32 s4, s2
	s_cbranch_execz .LBB27_6
; %bb.1:
	s_clause 0x2
	s_load_b64 s[20:21], s[0:1], 0x78
	s_load_b64 s[22:23], s[0:1], 0x10
	s_load_b128 s[12:15], s[0:1], 0x68
	s_bfe_u32 s2, ttmp6, 0x40014
	s_lshr_b32 s4, ttmp7, 16
	s_add_co_i32 s2, s2, 1
	s_bfe_u32 s5, ttmp6, 0x40008
	s_mul_i32 s2, s4, s2
	s_delay_alu instid0(SALU_CYCLE_1)
	s_add_co_i32 s5, s5, s2
	s_cmp_eq_u32 s3, 0
	s_cselect_b32 s16, s4, s5
	s_cmp_lt_i32 s18, 1
	s_cbranch_scc1 .LBB27_4
; %bb.2:
	s_clause 0x4
	s_load_b128 s[24:27], s[0:1], 0x48
	s_load_b32 s2, s[0:1], 0x18
	s_load_b256 s[4:11], s[0:1], 0x20
	s_load_b64 s[28:29], s[0:1], 0x58
	s_load_b32 s3, s[0:1], 0x40
	s_wait_kmcnt 0x0
	s_bitcmp1_b32 s2, 0
	s_load_b64 s[24:25], s[24:25], s16 offset:0x0 scale_offset
	v_mul_lo_u32 v0, v8, s8
	v_mul_lo_u32 v2, v9, s29
	s_cselect_b32 vcc_lo, -1, 0
	s_bitcmp1_b32 s3, 0
	s_mul_u64 s[10:11], s[10:11], s[16:17]
	s_cselect_b32 s2, -1, 0
	s_lshl_b64 s[10:11], s[10:11], 4
	s_lshl_b64 s[6:7], s[6:7], 4
	s_ashr_i32 s29, s28, 31
	s_add_nc_u64 s[6:7], s[10:11], s[6:7]
	s_lshl_b64 s[10:11], s[26:27], 4
	s_delay_alu instid0(VALU_DEP_1)
	v_dual_ashrrev_i32 v1, 31, v0 :: v_dual_ashrrev_i32 v3, 31, v2
	s_add_nc_u64 s[4:5], s[4:5], s[6:7]
	s_delay_alu instid0(VALU_DEP_1) | instid1(SALU_CYCLE_1)
	v_lshl_add_u64 v[4:5], v[0:1], 4, s[4:5]
	v_mov_b64_e32 v[0:1], 0
	s_ashr_i32 s5, s9, 31
	s_wait_kmcnt 0x0
	s_add_nc_u64 s[6:7], s[24:25], s[10:11]
	s_mov_b32 s4, s9
	v_lshl_add_u64 v[2:3], v[2:3], 4, s[6:7]
	v_add_nc_u64_e32 v[4:5], 8, v[4:5]
	s_lshl_b64 s[4:5], s[4:5], 4
	s_lshl_b64 s[6:7], s[28:29], 4
	s_delay_alu instid0(VALU_DEP_2)
	v_add_nc_u64_e32 v[6:7], 8, v[2:3]
	v_mov_b64_e32 v[2:3], 0
.LBB27_3:                               ; =>This Inner Loop Header: Depth=1
	global_load_b128 v[10:13], v[4:5], off offset:-8
	flat_load_b128 v[14:17], v[6:7] offset:-8
	s_wait_xcnt 0x1
	v_add_nc_u64_e32 v[4:5], s[4:5], v[4:5]
	s_wait_xcnt 0x0
	v_add_nc_u64_e32 v[6:7], s[6:7], v[6:7]
	s_add_co_i32 s18, s18, -1
	s_delay_alu instid0(SALU_CYCLE_1) | instskip(SKIP_4) | instid1(VALU_DEP_2)
	s_cmp_eq_u32 s18, 0
	s_wait_loadcnt 0x1
	v_xor_b32_e32 v18, 0x80000000, v13
	s_wait_loadcnt_dscnt 0x0
	v_xor_b32_e32 v19, 0x80000000, v17
	v_cndmask_b32_e32 v13, v13, v18, vcc_lo
	s_delay_alu instid0(VALU_DEP_2) | instskip(NEXT) | instid1(VALU_DEP_1)
	v_cndmask_b32_e64 v17, v17, v19, s2
	v_mul_f64_e32 v[18:19], v[12:13], v[16:17]
	v_mul_f64_e32 v[12:13], v[12:13], v[14:15]
	s_delay_alu instid0(VALU_DEP_2) | instskip(NEXT) | instid1(VALU_DEP_2)
	v_fma_f64 v[14:15], v[10:11], v[14:15], -v[18:19]
	v_fmac_f64_e32 v[12:13], v[10:11], v[16:17]
	s_delay_alu instid0(VALU_DEP_2) | instskip(NEXT) | instid1(VALU_DEP_2)
	v_add_f64_e32 v[2:3], v[2:3], v[14:15]
	v_add_f64_e32 v[0:1], v[0:1], v[12:13]
	s_cbranch_scc0 .LBB27_3
	s_branch .LBB27_5
.LBB27_4:
	v_mov_b64_e32 v[0:1], 0
	v_mov_b64_e32 v[2:3], 0
.LBB27_5:
	s_wait_kmcnt 0x0
	s_load_b128 s[8:11], s[22:23], 0x0
	s_load_b128 s[4:7], s[12:13], 0x0
                                        ; kill: killed $sgpr12_sgpr13
                                        ; kill: killed $sgpr22_sgpr23
	s_nop 0
	s_load_b128 s[0:3], s[0:1], 0x80
	s_wait_kmcnt 0x0
	s_delay_alu instid0(VALU_DEP_1) | instskip(SKIP_1) | instid1(VALU_DEP_1)
	v_mul_f64_e32 v[10:11], s[8:9], v[0:1]
	v_mul_lo_u32 v4, v8, s0
	v_mad_u32 v12, v9, s1, v4
	s_mul_u64 s[0:1], s[2:3], s[16:17]
	s_lshl_b64 s[2:3], s[20:21], 4
	s_lshl_b64 s[0:1], s[0:1], 4
	v_mul_f64_e32 v[8:9], s[10:11], v[0:1]
	s_add_nc_u64 s[0:1], s[14:15], s[0:1]
	s_delay_alu instid0(SALU_CYCLE_1)
	s_add_nc_u64 s[0:1], s[0:1], s[2:3]
	global_load_b128 v[4:7], v12, s[0:1] scale_offset
	v_fmac_f64_e32 v[10:11], s[10:11], v[2:3]
	v_fma_f64 v[8:9], s[8:9], v[2:3], -v[8:9]
	s_wait_loadcnt 0x0
	v_mul_f64_e32 v[0:1], s[6:7], v[6:7]
	v_mul_f64_e32 v[6:7], s[4:5], v[6:7]
	s_delay_alu instid0(VALU_DEP_2) | instskip(NEXT) | instid1(VALU_DEP_2)
	v_fma_f64 v[0:1], s[4:5], v[4:5], -v[0:1]
	v_fmac_f64_e32 v[6:7], s[6:7], v[4:5]
	s_delay_alu instid0(VALU_DEP_2) | instskip(NEXT) | instid1(VALU_DEP_2)
	v_add_f64_e32 v[0:1], v[8:9], v[0:1]
	v_add_f64_e32 v[2:3], v[10:11], v[6:7]
	global_store_b128 v12, v[0:3], s[0:1] scale_offset
.LBB27_6:
	s_endpgm
	.section	.rodata,"a",@progbits
	.p2align	6, 0x0
	.amdhsa_kernel _ZN9rocsolver6v33100L11gemm_kernelI19rocblas_complex_numIdEiPKS3_PS3_PKS6_S6_EEvT0_S9_S9_T1_bT2_lS9_S9_lbT3_lS9_S9_lSA_T4_lS9_S9_l
		.amdhsa_group_segment_fixed_size 0
		.amdhsa_private_segment_fixed_size 0
		.amdhsa_kernarg_size 400
		.amdhsa_user_sgpr_count 2
		.amdhsa_user_sgpr_dispatch_ptr 0
		.amdhsa_user_sgpr_queue_ptr 0
		.amdhsa_user_sgpr_kernarg_segment_ptr 1
		.amdhsa_user_sgpr_dispatch_id 0
		.amdhsa_user_sgpr_kernarg_preload_length 0
		.amdhsa_user_sgpr_kernarg_preload_offset 0
		.amdhsa_user_sgpr_private_segment_size 0
		.amdhsa_wavefront_size32 1
		.amdhsa_uses_dynamic_stack 0
		.amdhsa_enable_private_segment 0
		.amdhsa_system_sgpr_workgroup_id_x 1
		.amdhsa_system_sgpr_workgroup_id_y 1
		.amdhsa_system_sgpr_workgroup_id_z 1
		.amdhsa_system_sgpr_workgroup_info 0
		.amdhsa_system_vgpr_workitem_id 1
		.amdhsa_next_free_vgpr 20
		.amdhsa_next_free_sgpr 30
		.amdhsa_named_barrier_count 0
		.amdhsa_reserve_vcc 1
		.amdhsa_float_round_mode_32 0
		.amdhsa_float_round_mode_16_64 0
		.amdhsa_float_denorm_mode_32 3
		.amdhsa_float_denorm_mode_16_64 3
		.amdhsa_fp16_overflow 0
		.amdhsa_memory_ordered 1
		.amdhsa_forward_progress 1
		.amdhsa_inst_pref_size 6
		.amdhsa_round_robin_scheduling 0
		.amdhsa_exception_fp_ieee_invalid_op 0
		.amdhsa_exception_fp_denorm_src 0
		.amdhsa_exception_fp_ieee_div_zero 0
		.amdhsa_exception_fp_ieee_overflow 0
		.amdhsa_exception_fp_ieee_underflow 0
		.amdhsa_exception_fp_ieee_inexact 0
		.amdhsa_exception_int_div_zero 0
	.end_amdhsa_kernel
	.section	.text._ZN9rocsolver6v33100L11gemm_kernelI19rocblas_complex_numIdEiPKS3_PS3_PKS6_S6_EEvT0_S9_S9_T1_bT2_lS9_S9_lbT3_lS9_S9_lSA_T4_lS9_S9_l,"axG",@progbits,_ZN9rocsolver6v33100L11gemm_kernelI19rocblas_complex_numIdEiPKS3_PS3_PKS6_S6_EEvT0_S9_S9_T1_bT2_lS9_S9_lbT3_lS9_S9_lSA_T4_lS9_S9_l,comdat
.Lfunc_end27:
	.size	_ZN9rocsolver6v33100L11gemm_kernelI19rocblas_complex_numIdEiPKS3_PS3_PKS6_S6_EEvT0_S9_S9_T1_bT2_lS9_S9_lbT3_lS9_S9_lSA_T4_lS9_S9_l, .Lfunc_end27-_ZN9rocsolver6v33100L11gemm_kernelI19rocblas_complex_numIdEiPKS3_PS3_PKS6_S6_EEvT0_S9_S9_T1_bT2_lS9_S9_lbT3_lS9_S9_lSA_T4_lS9_S9_l
                                        ; -- End function
	.set _ZN9rocsolver6v33100L11gemm_kernelI19rocblas_complex_numIdEiPKS3_PS3_PKS6_S6_EEvT0_S9_S9_T1_bT2_lS9_S9_lbT3_lS9_S9_lSA_T4_lS9_S9_l.num_vgpr, 20
	.set _ZN9rocsolver6v33100L11gemm_kernelI19rocblas_complex_numIdEiPKS3_PS3_PKS6_S6_EEvT0_S9_S9_T1_bT2_lS9_S9_lbT3_lS9_S9_lSA_T4_lS9_S9_l.num_agpr, 0
	.set _ZN9rocsolver6v33100L11gemm_kernelI19rocblas_complex_numIdEiPKS3_PS3_PKS6_S6_EEvT0_S9_S9_T1_bT2_lS9_S9_lbT3_lS9_S9_lSA_T4_lS9_S9_l.numbered_sgpr, 30
	.set _ZN9rocsolver6v33100L11gemm_kernelI19rocblas_complex_numIdEiPKS3_PS3_PKS6_S6_EEvT0_S9_S9_T1_bT2_lS9_S9_lbT3_lS9_S9_lSA_T4_lS9_S9_l.num_named_barrier, 0
	.set _ZN9rocsolver6v33100L11gemm_kernelI19rocblas_complex_numIdEiPKS3_PS3_PKS6_S6_EEvT0_S9_S9_T1_bT2_lS9_S9_lbT3_lS9_S9_lSA_T4_lS9_S9_l.private_seg_size, 0
	.set _ZN9rocsolver6v33100L11gemm_kernelI19rocblas_complex_numIdEiPKS3_PS3_PKS6_S6_EEvT0_S9_S9_T1_bT2_lS9_S9_lbT3_lS9_S9_lSA_T4_lS9_S9_l.uses_vcc, 1
	.set _ZN9rocsolver6v33100L11gemm_kernelI19rocblas_complex_numIdEiPKS3_PS3_PKS6_S6_EEvT0_S9_S9_T1_bT2_lS9_S9_lbT3_lS9_S9_lSA_T4_lS9_S9_l.uses_flat_scratch, 0
	.set _ZN9rocsolver6v33100L11gemm_kernelI19rocblas_complex_numIdEiPKS3_PS3_PKS6_S6_EEvT0_S9_S9_T1_bT2_lS9_S9_lbT3_lS9_S9_lSA_T4_lS9_S9_l.has_dyn_sized_stack, 0
	.set _ZN9rocsolver6v33100L11gemm_kernelI19rocblas_complex_numIdEiPKS3_PS3_PKS6_S6_EEvT0_S9_S9_T1_bT2_lS9_S9_lbT3_lS9_S9_lSA_T4_lS9_S9_l.has_recursion, 0
	.set _ZN9rocsolver6v33100L11gemm_kernelI19rocblas_complex_numIdEiPKS3_PS3_PKS6_S6_EEvT0_S9_S9_T1_bT2_lS9_S9_lbT3_lS9_S9_lSA_T4_lS9_S9_l.has_indirect_call, 0
	.section	.AMDGPU.csdata,"",@progbits
; Kernel info:
; codeLenInByte = 768
; TotalNumSgprs: 32
; NumVgprs: 20
; ScratchSize: 0
; MemoryBound: 0
; FloatMode: 240
; IeeeMode: 1
; LDSByteSize: 0 bytes/workgroup (compile time only)
; SGPRBlocks: 0
; VGPRBlocks: 1
; NumSGPRsForWavesPerEU: 32
; NumVGPRsForWavesPerEU: 20
; NamedBarCnt: 0
; Occupancy: 16
; WaveLimiterHint : 1
; COMPUTE_PGM_RSRC2:SCRATCH_EN: 0
; COMPUTE_PGM_RSRC2:USER_SGPR: 2
; COMPUTE_PGM_RSRC2:TRAP_HANDLER: 0
; COMPUTE_PGM_RSRC2:TGID_X_EN: 1
; COMPUTE_PGM_RSRC2:TGID_Y_EN: 1
; COMPUTE_PGM_RSRC2:TGID_Z_EN: 1
; COMPUTE_PGM_RSRC2:TIDIG_COMP_CNT: 1
	.section	.text._ZN9rocsolver6v33100L11gemm_kernelI19rocblas_complex_numIdEiS3_PS3_PKS4_S4_EEvT0_S7_S7_T1_bT2_lS7_S7_lbT3_lS7_S7_lS8_T4_lS7_S7_l,"axG",@progbits,_ZN9rocsolver6v33100L11gemm_kernelI19rocblas_complex_numIdEiS3_PS3_PKS4_S4_EEvT0_S7_S7_T1_bT2_lS7_S7_lbT3_lS7_S7_lS8_T4_lS7_S7_l,comdat
	.globl	_ZN9rocsolver6v33100L11gemm_kernelI19rocblas_complex_numIdEiS3_PS3_PKS4_S4_EEvT0_S7_S7_T1_bT2_lS7_S7_lbT3_lS7_S7_lS8_T4_lS7_S7_l ; -- Begin function _ZN9rocsolver6v33100L11gemm_kernelI19rocblas_complex_numIdEiS3_PS3_PKS4_S4_EEvT0_S7_S7_T1_bT2_lS7_S7_lbT3_lS7_S7_lS8_T4_lS7_S7_l
	.p2align	8
	.type	_ZN9rocsolver6v33100L11gemm_kernelI19rocblas_complex_numIdEiS3_PS3_PKS4_S4_EEvT0_S7_S7_T1_bT2_lS7_S7_lbT3_lS7_S7_lS8_T4_lS7_S7_l,@function
_ZN9rocsolver6v33100L11gemm_kernelI19rocblas_complex_numIdEiS3_PS3_PKS4_S4_EEvT0_S7_S7_T1_bT2_lS7_S7_lbT3_lS7_S7_lS8_T4_lS7_S7_l: ; @_ZN9rocsolver6v33100L11gemm_kernelI19rocblas_complex_numIdEiS3_PS3_PKS4_S4_EEvT0_S7_S7_T1_bT2_lS7_S7_lbT3_lS7_S7_lS8_T4_lS7_S7_l
; %bb.0:
	s_clause 0x1
	s_load_b32 s2, s[0:1], 0xac
	s_load_b96 s[12:14], s[0:1], 0x0
	s_bfe_u32 s5, ttmp6, 0x40010
	s_bfe_u32 s8, ttmp6, 0x4000c
	s_and_b32 s4, ttmp7, 0xffff
	s_add_co_i32 s5, s5, 1
	s_add_co_i32 s8, s8, 1
	s_bfe_u32 s6, ttmp6, 0x40004
	s_and_b32 s7, ttmp6, 15
	s_mul_i32 s5, s4, s5
	s_mul_i32 s8, ttmp9, s8
	s_getreg_b32 s3, hwreg(HW_REG_IB_STS2, 6, 4)
	v_and_b32_e32 v1, 0x3ff, v0
	v_bfe_u32 v0, v0, 10, 10
	s_add_co_i32 s6, s6, s5
	s_add_co_i32 s7, s7, s8
	s_mov_b32 s17, 0
	s_wait_kmcnt 0x0
	s_lshr_b32 s5, s2, 16
	s_and_b32 s2, s2, 0xffff
	s_cmp_eq_u32 s3, 0
	s_cselect_b32 s7, ttmp9, s7
	s_cselect_b32 s4, s4, s6
	v_mad_u32 v8, s7, s2, v1
	v_mad_u32 v9, s4, s5, v0
	s_delay_alu instid0(VALU_DEP_2) | instskip(NEXT) | instid1(VALU_DEP_2)
	v_cmp_gt_i32_e32 vcc_lo, s12, v8
	v_cmp_gt_i32_e64 s2, s13, v9
	s_and_b32 s2, vcc_lo, s2
	s_delay_alu instid0(SALU_CYCLE_1)
	s_and_saveexec_b32 s4, s2
	s_cbranch_execz .LBB28_6
; %bb.1:
	s_bfe_u32 s2, ttmp6, 0x40014
	s_lshr_b32 s4, ttmp7, 16
	s_add_co_i32 s2, s2, 1
	s_bfe_u32 s5, ttmp6, 0x40008
	s_mul_i32 s2, s4, s2
	s_delay_alu instid0(SALU_CYCLE_1)
	s_add_co_i32 s5, s5, s2
	s_cmp_eq_u32 s3, 0
	s_cselect_b32 s16, s4, s5
	s_cmp_lt_i32 s14, 1
	s_cbranch_scc1 .LBB28_4
; %bb.2:
	s_clause 0x4
	s_load_b128 s[20:23], s[0:1], 0x50
	s_load_b32 s2, s[0:1], 0x20
	s_load_b256 s[4:11], s[0:1], 0x28
	s_load_b64 s[12:13], s[0:1], 0x60
	s_load_b32 s3, s[0:1], 0x48
	s_wait_kmcnt 0x0
	s_bitcmp1_b32 s2, 0
	s_load_b64 s[18:19], s[20:21], s16 offset:0x0 scale_offset
	v_mul_lo_u32 v0, v8, s8
	v_mul_lo_u32 v2, v9, s13
	s_cselect_b32 vcc_lo, -1, 0
	s_bitcmp1_b32 s3, 0
	s_mul_u64 s[10:11], s[10:11], s[16:17]
	s_cselect_b32 s2, -1, 0
	s_lshl_b64 s[10:11], s[10:11], 4
	s_lshl_b64 s[6:7], s[6:7], 4
	s_ashr_i32 s13, s12, 31
	s_add_nc_u64 s[6:7], s[10:11], s[6:7]
	s_lshl_b64 s[10:11], s[22:23], 4
	s_delay_alu instid0(VALU_DEP_1)
	v_dual_ashrrev_i32 v1, 31, v0 :: v_dual_ashrrev_i32 v3, 31, v2
	s_add_nc_u64 s[4:5], s[4:5], s[6:7]
	s_delay_alu instid0(VALU_DEP_1) | instid1(SALU_CYCLE_1)
	v_lshl_add_u64 v[4:5], v[0:1], 4, s[4:5]
	v_mov_b64_e32 v[0:1], 0
	s_ashr_i32 s5, s9, 31
	s_wait_kmcnt 0x0
	s_add_nc_u64 s[6:7], s[18:19], s[10:11]
	s_mov_b32 s4, s9
	v_lshl_add_u64 v[2:3], v[2:3], 4, s[6:7]
	v_add_nc_u64_e32 v[4:5], 8, v[4:5]
	s_lshl_b64 s[4:5], s[4:5], 4
	s_lshl_b64 s[6:7], s[12:13], 4
	s_delay_alu instid0(VALU_DEP_2)
	v_add_nc_u64_e32 v[6:7], 8, v[2:3]
	v_mov_b64_e32 v[2:3], 0
.LBB28_3:                               ; =>This Inner Loop Header: Depth=1
	global_load_b128 v[10:13], v[4:5], off offset:-8
	flat_load_b128 v[14:17], v[6:7] offset:-8
	s_wait_xcnt 0x1
	v_add_nc_u64_e32 v[4:5], s[4:5], v[4:5]
	s_wait_xcnt 0x0
	v_add_nc_u64_e32 v[6:7], s[6:7], v[6:7]
	s_add_co_i32 s14, s14, -1
	s_delay_alu instid0(SALU_CYCLE_1) | instskip(SKIP_4) | instid1(VALU_DEP_2)
	s_cmp_eq_u32 s14, 0
	s_wait_loadcnt 0x1
	v_xor_b32_e32 v18, 0x80000000, v13
	s_wait_loadcnt_dscnt 0x0
	v_xor_b32_e32 v19, 0x80000000, v17
	v_cndmask_b32_e32 v13, v13, v18, vcc_lo
	s_delay_alu instid0(VALU_DEP_2) | instskip(NEXT) | instid1(VALU_DEP_1)
	v_cndmask_b32_e64 v17, v17, v19, s2
	v_mul_f64_e32 v[18:19], v[12:13], v[16:17]
	v_mul_f64_e32 v[12:13], v[12:13], v[14:15]
	s_delay_alu instid0(VALU_DEP_2) | instskip(NEXT) | instid1(VALU_DEP_2)
	v_fma_f64 v[14:15], v[10:11], v[14:15], -v[18:19]
	v_fmac_f64_e32 v[12:13], v[10:11], v[16:17]
	s_delay_alu instid0(VALU_DEP_2) | instskip(NEXT) | instid1(VALU_DEP_2)
	v_add_f64_e32 v[2:3], v[2:3], v[14:15]
	v_add_f64_e32 v[0:1], v[0:1], v[12:13]
	s_cbranch_scc0 .LBB28_3
	s_branch .LBB28_5
.LBB28_4:
	v_mov_b64_e32 v[0:1], 0
	v_mov_b64_e32 v[2:3], 0
.LBB28_5:
	s_clause 0x1
	s_load_b256 s[4:11], s[0:1], 0x70
	s_load_b128 s[12:15], s[0:1], 0x10
	s_wait_xcnt 0x0
	s_load_b128 s[0:3], s[0:1], 0x90
	s_wait_kmcnt 0x0
	s_delay_alu instid0(VALU_DEP_1) | instskip(SKIP_1) | instid1(VALU_DEP_1)
	v_mul_f64_e32 v[10:11], s[12:13], v[0:1]
	v_mul_lo_u32 v4, v8, s0
	v_mad_u32 v12, v9, s1, v4
	s_mul_u64 s[0:1], s[2:3], s[16:17]
	s_lshl_b64 s[2:3], s[10:11], 4
	s_lshl_b64 s[0:1], s[0:1], 4
	v_mul_f64_e32 v[8:9], s[14:15], v[0:1]
	s_add_nc_u64 s[0:1], s[8:9], s[0:1]
	s_delay_alu instid0(SALU_CYCLE_1)
	s_add_nc_u64 s[0:1], s[0:1], s[2:3]
	global_load_b128 v[4:7], v12, s[0:1] scale_offset
	v_fmac_f64_e32 v[10:11], s[14:15], v[2:3]
	v_fma_f64 v[8:9], s[12:13], v[2:3], -v[8:9]
	s_wait_loadcnt 0x0
	v_mul_f64_e32 v[0:1], s[6:7], v[6:7]
	v_mul_f64_e32 v[6:7], s[4:5], v[6:7]
	s_delay_alu instid0(VALU_DEP_2) | instskip(NEXT) | instid1(VALU_DEP_2)
	v_fma_f64 v[0:1], s[4:5], v[4:5], -v[0:1]
	v_fmac_f64_e32 v[6:7], s[6:7], v[4:5]
	s_delay_alu instid0(VALU_DEP_2) | instskip(NEXT) | instid1(VALU_DEP_2)
	v_add_f64_e32 v[0:1], v[8:9], v[0:1]
	v_add_f64_e32 v[2:3], v[10:11], v[6:7]
	global_store_b128 v12, v[0:3], s[0:1] scale_offset
.LBB28_6:
	s_endpgm
	.section	.rodata,"a",@progbits
	.p2align	6, 0x0
	.amdhsa_kernel _ZN9rocsolver6v33100L11gemm_kernelI19rocblas_complex_numIdEiS3_PS3_PKS4_S4_EEvT0_S7_S7_T1_bT2_lS7_S7_lbT3_lS7_S7_lS8_T4_lS7_S7_l
		.amdhsa_group_segment_fixed_size 0
		.amdhsa_private_segment_fixed_size 0
		.amdhsa_kernarg_size 416
		.amdhsa_user_sgpr_count 2
		.amdhsa_user_sgpr_dispatch_ptr 0
		.amdhsa_user_sgpr_queue_ptr 0
		.amdhsa_user_sgpr_kernarg_segment_ptr 1
		.amdhsa_user_sgpr_dispatch_id 0
		.amdhsa_user_sgpr_kernarg_preload_length 0
		.amdhsa_user_sgpr_kernarg_preload_offset 0
		.amdhsa_user_sgpr_private_segment_size 0
		.amdhsa_wavefront_size32 1
		.amdhsa_uses_dynamic_stack 0
		.amdhsa_enable_private_segment 0
		.amdhsa_system_sgpr_workgroup_id_x 1
		.amdhsa_system_sgpr_workgroup_id_y 1
		.amdhsa_system_sgpr_workgroup_id_z 1
		.amdhsa_system_sgpr_workgroup_info 0
		.amdhsa_system_vgpr_workitem_id 1
		.amdhsa_next_free_vgpr 20
		.amdhsa_next_free_sgpr 24
		.amdhsa_named_barrier_count 0
		.amdhsa_reserve_vcc 1
		.amdhsa_float_round_mode_32 0
		.amdhsa_float_round_mode_16_64 0
		.amdhsa_float_denorm_mode_32 3
		.amdhsa_float_denorm_mode_16_64 3
		.amdhsa_fp16_overflow 0
		.amdhsa_memory_ordered 1
		.amdhsa_forward_progress 1
		.amdhsa_inst_pref_size 6
		.amdhsa_round_robin_scheduling 0
		.amdhsa_exception_fp_ieee_invalid_op 0
		.amdhsa_exception_fp_denorm_src 0
		.amdhsa_exception_fp_ieee_div_zero 0
		.amdhsa_exception_fp_ieee_overflow 0
		.amdhsa_exception_fp_ieee_underflow 0
		.amdhsa_exception_fp_ieee_inexact 0
		.amdhsa_exception_int_div_zero 0
	.end_amdhsa_kernel
	.section	.text._ZN9rocsolver6v33100L11gemm_kernelI19rocblas_complex_numIdEiS3_PS3_PKS4_S4_EEvT0_S7_S7_T1_bT2_lS7_S7_lbT3_lS7_S7_lS8_T4_lS7_S7_l,"axG",@progbits,_ZN9rocsolver6v33100L11gemm_kernelI19rocblas_complex_numIdEiS3_PS3_PKS4_S4_EEvT0_S7_S7_T1_bT2_lS7_S7_lbT3_lS7_S7_lS8_T4_lS7_S7_l,comdat
.Lfunc_end28:
	.size	_ZN9rocsolver6v33100L11gemm_kernelI19rocblas_complex_numIdEiS3_PS3_PKS4_S4_EEvT0_S7_S7_T1_bT2_lS7_S7_lbT3_lS7_S7_lS8_T4_lS7_S7_l, .Lfunc_end28-_ZN9rocsolver6v33100L11gemm_kernelI19rocblas_complex_numIdEiS3_PS3_PKS4_S4_EEvT0_S7_S7_T1_bT2_lS7_S7_lbT3_lS7_S7_lS8_T4_lS7_S7_l
                                        ; -- End function
	.set _ZN9rocsolver6v33100L11gemm_kernelI19rocblas_complex_numIdEiS3_PS3_PKS4_S4_EEvT0_S7_S7_T1_bT2_lS7_S7_lbT3_lS7_S7_lS8_T4_lS7_S7_l.num_vgpr, 20
	.set _ZN9rocsolver6v33100L11gemm_kernelI19rocblas_complex_numIdEiS3_PS3_PKS4_S4_EEvT0_S7_S7_T1_bT2_lS7_S7_lbT3_lS7_S7_lS8_T4_lS7_S7_l.num_agpr, 0
	.set _ZN9rocsolver6v33100L11gemm_kernelI19rocblas_complex_numIdEiS3_PS3_PKS4_S4_EEvT0_S7_S7_T1_bT2_lS7_S7_lbT3_lS7_S7_lS8_T4_lS7_S7_l.numbered_sgpr, 24
	.set _ZN9rocsolver6v33100L11gemm_kernelI19rocblas_complex_numIdEiS3_PS3_PKS4_S4_EEvT0_S7_S7_T1_bT2_lS7_S7_lbT3_lS7_S7_lS8_T4_lS7_S7_l.num_named_barrier, 0
	.set _ZN9rocsolver6v33100L11gemm_kernelI19rocblas_complex_numIdEiS3_PS3_PKS4_S4_EEvT0_S7_S7_T1_bT2_lS7_S7_lbT3_lS7_S7_lS8_T4_lS7_S7_l.private_seg_size, 0
	.set _ZN9rocsolver6v33100L11gemm_kernelI19rocblas_complex_numIdEiS3_PS3_PKS4_S4_EEvT0_S7_S7_T1_bT2_lS7_S7_lbT3_lS7_S7_lS8_T4_lS7_S7_l.uses_vcc, 1
	.set _ZN9rocsolver6v33100L11gemm_kernelI19rocblas_complex_numIdEiS3_PS3_PKS4_S4_EEvT0_S7_S7_T1_bT2_lS7_S7_lbT3_lS7_S7_lS8_T4_lS7_S7_l.uses_flat_scratch, 0
	.set _ZN9rocsolver6v33100L11gemm_kernelI19rocblas_complex_numIdEiS3_PS3_PKS4_S4_EEvT0_S7_S7_T1_bT2_lS7_S7_lbT3_lS7_S7_lS8_T4_lS7_S7_l.has_dyn_sized_stack, 0
	.set _ZN9rocsolver6v33100L11gemm_kernelI19rocblas_complex_numIdEiS3_PS3_PKS4_S4_EEvT0_S7_S7_T1_bT2_lS7_S7_lbT3_lS7_S7_lS8_T4_lS7_S7_l.has_recursion, 0
	.set _ZN9rocsolver6v33100L11gemm_kernelI19rocblas_complex_numIdEiS3_PS3_PKS4_S4_EEvT0_S7_S7_T1_bT2_lS7_S7_lbT3_lS7_S7_lS8_T4_lS7_S7_l.has_indirect_call, 0
	.section	.AMDGPU.csdata,"",@progbits
; Kernel info:
; codeLenInByte = 740
; TotalNumSgprs: 26
; NumVgprs: 20
; ScratchSize: 0
; MemoryBound: 0
; FloatMode: 240
; IeeeMode: 1
; LDSByteSize: 0 bytes/workgroup (compile time only)
; SGPRBlocks: 0
; VGPRBlocks: 1
; NumSGPRsForWavesPerEU: 26
; NumVGPRsForWavesPerEU: 20
; NamedBarCnt: 0
; Occupancy: 16
; WaveLimiterHint : 1
; COMPUTE_PGM_RSRC2:SCRATCH_EN: 0
; COMPUTE_PGM_RSRC2:USER_SGPR: 2
; COMPUTE_PGM_RSRC2:TRAP_HANDLER: 0
; COMPUTE_PGM_RSRC2:TGID_X_EN: 1
; COMPUTE_PGM_RSRC2:TGID_Y_EN: 1
; COMPUTE_PGM_RSRC2:TGID_Z_EN: 1
; COMPUTE_PGM_RSRC2:TIDIG_COMP_CNT: 1
	.section	.text._ZN9rocsolver6v33100L16mfma_gemm_kernelI19rocblas_complex_numIdEiPKS3_PS3_S6_PKS6_EEv18rocblas_operation_S9_T0_SA_SA_T1_T2_lSA_SA_lT3_lSA_SA_lSB_T4_lSA_SA_l,"axG",@progbits,_ZN9rocsolver6v33100L16mfma_gemm_kernelI19rocblas_complex_numIdEiPKS3_PS3_S6_PKS6_EEv18rocblas_operation_S9_T0_SA_SA_T1_T2_lSA_SA_lT3_lSA_SA_lSB_T4_lSA_SA_l,comdat
	.globl	_ZN9rocsolver6v33100L16mfma_gemm_kernelI19rocblas_complex_numIdEiPKS3_PS3_S6_PKS6_EEv18rocblas_operation_S9_T0_SA_SA_T1_T2_lSA_SA_lT3_lSA_SA_lSB_T4_lSA_SA_l ; -- Begin function _ZN9rocsolver6v33100L16mfma_gemm_kernelI19rocblas_complex_numIdEiPKS3_PS3_S6_PKS6_EEv18rocblas_operation_S9_T0_SA_SA_T1_T2_lSA_SA_lT3_lSA_SA_lSB_T4_lSA_SA_l
	.p2align	8
	.type	_ZN9rocsolver6v33100L16mfma_gemm_kernelI19rocblas_complex_numIdEiPKS3_PS3_S6_PKS6_EEv18rocblas_operation_S9_T0_SA_SA_T1_T2_lSA_SA_lT3_lSA_SA_lSB_T4_lSA_SA_l,@function
_ZN9rocsolver6v33100L16mfma_gemm_kernelI19rocblas_complex_numIdEiPKS3_PS3_S6_PKS6_EEv18rocblas_operation_S9_T0_SA_SA_T1_T2_lSA_SA_lT3_lSA_SA_lSB_T4_lSA_SA_l: ; @_ZN9rocsolver6v33100L16mfma_gemm_kernelI19rocblas_complex_numIdEiPKS3_PS3_S6_PKS6_EEv18rocblas_operation_S9_T0_SA_SA_T1_T2_lSA_SA_lT3_lSA_SA_lSB_T4_lSA_SA_l
; %bb.0:
	s_endpgm
	.section	.rodata,"a",@progbits
	.p2align	6, 0x0
	.amdhsa_kernel _ZN9rocsolver6v33100L16mfma_gemm_kernelI19rocblas_complex_numIdEiPKS3_PS3_S6_PKS6_EEv18rocblas_operation_S9_T0_SA_SA_T1_T2_lSA_SA_lT3_lSA_SA_lSB_T4_lSA_SA_l
		.amdhsa_group_segment_fixed_size 0
		.amdhsa_private_segment_fixed_size 0
		.amdhsa_kernarg_size 136
		.amdhsa_user_sgpr_count 2
		.amdhsa_user_sgpr_dispatch_ptr 0
		.amdhsa_user_sgpr_queue_ptr 0
		.amdhsa_user_sgpr_kernarg_segment_ptr 1
		.amdhsa_user_sgpr_dispatch_id 0
		.amdhsa_user_sgpr_kernarg_preload_length 0
		.amdhsa_user_sgpr_kernarg_preload_offset 0
		.amdhsa_user_sgpr_private_segment_size 0
		.amdhsa_wavefront_size32 1
		.amdhsa_uses_dynamic_stack 0
		.amdhsa_enable_private_segment 0
		.amdhsa_system_sgpr_workgroup_id_x 1
		.amdhsa_system_sgpr_workgroup_id_y 0
		.amdhsa_system_sgpr_workgroup_id_z 0
		.amdhsa_system_sgpr_workgroup_info 0
		.amdhsa_system_vgpr_workitem_id 0
		.amdhsa_next_free_vgpr 1
		.amdhsa_next_free_sgpr 1
		.amdhsa_named_barrier_count 0
		.amdhsa_reserve_vcc 0
		.amdhsa_float_round_mode_32 0
		.amdhsa_float_round_mode_16_64 0
		.amdhsa_float_denorm_mode_32 3
		.amdhsa_float_denorm_mode_16_64 3
		.amdhsa_fp16_overflow 0
		.amdhsa_memory_ordered 1
		.amdhsa_forward_progress 1
		.amdhsa_inst_pref_size 1
		.amdhsa_round_robin_scheduling 0
		.amdhsa_exception_fp_ieee_invalid_op 0
		.amdhsa_exception_fp_denorm_src 0
		.amdhsa_exception_fp_ieee_div_zero 0
		.amdhsa_exception_fp_ieee_overflow 0
		.amdhsa_exception_fp_ieee_underflow 0
		.amdhsa_exception_fp_ieee_inexact 0
		.amdhsa_exception_int_div_zero 0
	.end_amdhsa_kernel
	.section	.text._ZN9rocsolver6v33100L16mfma_gemm_kernelI19rocblas_complex_numIdEiPKS3_PS3_S6_PKS6_EEv18rocblas_operation_S9_T0_SA_SA_T1_T2_lSA_SA_lT3_lSA_SA_lSB_T4_lSA_SA_l,"axG",@progbits,_ZN9rocsolver6v33100L16mfma_gemm_kernelI19rocblas_complex_numIdEiPKS3_PS3_S6_PKS6_EEv18rocblas_operation_S9_T0_SA_SA_T1_T2_lSA_SA_lT3_lSA_SA_lSB_T4_lSA_SA_l,comdat
.Lfunc_end29:
	.size	_ZN9rocsolver6v33100L16mfma_gemm_kernelI19rocblas_complex_numIdEiPKS3_PS3_S6_PKS6_EEv18rocblas_operation_S9_T0_SA_SA_T1_T2_lSA_SA_lT3_lSA_SA_lSB_T4_lSA_SA_l, .Lfunc_end29-_ZN9rocsolver6v33100L16mfma_gemm_kernelI19rocblas_complex_numIdEiPKS3_PS3_S6_PKS6_EEv18rocblas_operation_S9_T0_SA_SA_T1_T2_lSA_SA_lT3_lSA_SA_lSB_T4_lSA_SA_l
                                        ; -- End function
	.set _ZN9rocsolver6v33100L16mfma_gemm_kernelI19rocblas_complex_numIdEiPKS3_PS3_S6_PKS6_EEv18rocblas_operation_S9_T0_SA_SA_T1_T2_lSA_SA_lT3_lSA_SA_lSB_T4_lSA_SA_l.num_vgpr, 0
	.set _ZN9rocsolver6v33100L16mfma_gemm_kernelI19rocblas_complex_numIdEiPKS3_PS3_S6_PKS6_EEv18rocblas_operation_S9_T0_SA_SA_T1_T2_lSA_SA_lT3_lSA_SA_lSB_T4_lSA_SA_l.num_agpr, 0
	.set _ZN9rocsolver6v33100L16mfma_gemm_kernelI19rocblas_complex_numIdEiPKS3_PS3_S6_PKS6_EEv18rocblas_operation_S9_T0_SA_SA_T1_T2_lSA_SA_lT3_lSA_SA_lSB_T4_lSA_SA_l.numbered_sgpr, 0
	.set _ZN9rocsolver6v33100L16mfma_gemm_kernelI19rocblas_complex_numIdEiPKS3_PS3_S6_PKS6_EEv18rocblas_operation_S9_T0_SA_SA_T1_T2_lSA_SA_lT3_lSA_SA_lSB_T4_lSA_SA_l.num_named_barrier, 0
	.set _ZN9rocsolver6v33100L16mfma_gemm_kernelI19rocblas_complex_numIdEiPKS3_PS3_S6_PKS6_EEv18rocblas_operation_S9_T0_SA_SA_T1_T2_lSA_SA_lT3_lSA_SA_lSB_T4_lSA_SA_l.private_seg_size, 0
	.set _ZN9rocsolver6v33100L16mfma_gemm_kernelI19rocblas_complex_numIdEiPKS3_PS3_S6_PKS6_EEv18rocblas_operation_S9_T0_SA_SA_T1_T2_lSA_SA_lT3_lSA_SA_lSB_T4_lSA_SA_l.uses_vcc, 0
	.set _ZN9rocsolver6v33100L16mfma_gemm_kernelI19rocblas_complex_numIdEiPKS3_PS3_S6_PKS6_EEv18rocblas_operation_S9_T0_SA_SA_T1_T2_lSA_SA_lT3_lSA_SA_lSB_T4_lSA_SA_l.uses_flat_scratch, 0
	.set _ZN9rocsolver6v33100L16mfma_gemm_kernelI19rocblas_complex_numIdEiPKS3_PS3_S6_PKS6_EEv18rocblas_operation_S9_T0_SA_SA_T1_T2_lSA_SA_lT3_lSA_SA_lSB_T4_lSA_SA_l.has_dyn_sized_stack, 0
	.set _ZN9rocsolver6v33100L16mfma_gemm_kernelI19rocblas_complex_numIdEiPKS3_PS3_S6_PKS6_EEv18rocblas_operation_S9_T0_SA_SA_T1_T2_lSA_SA_lT3_lSA_SA_lSB_T4_lSA_SA_l.has_recursion, 0
	.set _ZN9rocsolver6v33100L16mfma_gemm_kernelI19rocblas_complex_numIdEiPKS3_PS3_S6_PKS6_EEv18rocblas_operation_S9_T0_SA_SA_T1_T2_lSA_SA_lT3_lSA_SA_lSB_T4_lSA_SA_l.has_indirect_call, 0
	.section	.AMDGPU.csdata,"",@progbits
; Kernel info:
; codeLenInByte = 4
; TotalNumSgprs: 0
; NumVgprs: 0
; ScratchSize: 0
; MemoryBound: 0
; FloatMode: 240
; IeeeMode: 1
; LDSByteSize: 0 bytes/workgroup (compile time only)
; SGPRBlocks: 0
; VGPRBlocks: 0
; NumSGPRsForWavesPerEU: 1
; NumVGPRsForWavesPerEU: 1
; NamedBarCnt: 0
; Occupancy: 16
; WaveLimiterHint : 0
; COMPUTE_PGM_RSRC2:SCRATCH_EN: 0
; COMPUTE_PGM_RSRC2:USER_SGPR: 2
; COMPUTE_PGM_RSRC2:TRAP_HANDLER: 0
; COMPUTE_PGM_RSRC2:TGID_X_EN: 1
; COMPUTE_PGM_RSRC2:TGID_Y_EN: 0
; COMPUTE_PGM_RSRC2:TGID_Z_EN: 0
; COMPUTE_PGM_RSRC2:TIDIG_COMP_CNT: 0
	.section	.text._ZN9rocsolver6v33100L16mfma_gemm_kernelI19rocblas_complex_numIdEiS3_PS3_S4_PKS4_EEv18rocblas_operation_S7_T0_S8_S8_T1_T2_lS8_S8_lT3_lS8_S8_lS9_T4_lS8_S8_l,"axG",@progbits,_ZN9rocsolver6v33100L16mfma_gemm_kernelI19rocblas_complex_numIdEiS3_PS3_S4_PKS4_EEv18rocblas_operation_S7_T0_S8_S8_T1_T2_lS8_S8_lT3_lS8_S8_lS9_T4_lS8_S8_l,comdat
	.globl	_ZN9rocsolver6v33100L16mfma_gemm_kernelI19rocblas_complex_numIdEiS3_PS3_S4_PKS4_EEv18rocblas_operation_S7_T0_S8_S8_T1_T2_lS8_S8_lT3_lS8_S8_lS9_T4_lS8_S8_l ; -- Begin function _ZN9rocsolver6v33100L16mfma_gemm_kernelI19rocblas_complex_numIdEiS3_PS3_S4_PKS4_EEv18rocblas_operation_S7_T0_S8_S8_T1_T2_lS8_S8_lT3_lS8_S8_lS9_T4_lS8_S8_l
	.p2align	8
	.type	_ZN9rocsolver6v33100L16mfma_gemm_kernelI19rocblas_complex_numIdEiS3_PS3_S4_PKS4_EEv18rocblas_operation_S7_T0_S8_S8_T1_T2_lS8_S8_lT3_lS8_S8_lS9_T4_lS8_S8_l,@function
_ZN9rocsolver6v33100L16mfma_gemm_kernelI19rocblas_complex_numIdEiS3_PS3_S4_PKS4_EEv18rocblas_operation_S7_T0_S8_S8_T1_T2_lS8_S8_lT3_lS8_S8_lS9_T4_lS8_S8_l: ; @_ZN9rocsolver6v33100L16mfma_gemm_kernelI19rocblas_complex_numIdEiS3_PS3_S4_PKS4_EEv18rocblas_operation_S7_T0_S8_S8_T1_T2_lS8_S8_lT3_lS8_S8_lS9_T4_lS8_S8_l
; %bb.0:
	s_endpgm
	.section	.rodata,"a",@progbits
	.p2align	6, 0x0
	.amdhsa_kernel _ZN9rocsolver6v33100L16mfma_gemm_kernelI19rocblas_complex_numIdEiS3_PS3_S4_PKS4_EEv18rocblas_operation_S7_T0_S8_S8_T1_T2_lS8_S8_lT3_lS8_S8_lS9_T4_lS8_S8_l
		.amdhsa_group_segment_fixed_size 0
		.amdhsa_private_segment_fixed_size 0
		.amdhsa_kernarg_size 152
		.amdhsa_user_sgpr_count 2
		.amdhsa_user_sgpr_dispatch_ptr 0
		.amdhsa_user_sgpr_queue_ptr 0
		.amdhsa_user_sgpr_kernarg_segment_ptr 1
		.amdhsa_user_sgpr_dispatch_id 0
		.amdhsa_user_sgpr_kernarg_preload_length 0
		.amdhsa_user_sgpr_kernarg_preload_offset 0
		.amdhsa_user_sgpr_private_segment_size 0
		.amdhsa_wavefront_size32 1
		.amdhsa_uses_dynamic_stack 0
		.amdhsa_enable_private_segment 0
		.amdhsa_system_sgpr_workgroup_id_x 1
		.amdhsa_system_sgpr_workgroup_id_y 0
		.amdhsa_system_sgpr_workgroup_id_z 0
		.amdhsa_system_sgpr_workgroup_info 0
		.amdhsa_system_vgpr_workitem_id 0
		.amdhsa_next_free_vgpr 1
		.amdhsa_next_free_sgpr 1
		.amdhsa_named_barrier_count 0
		.amdhsa_reserve_vcc 0
		.amdhsa_float_round_mode_32 0
		.amdhsa_float_round_mode_16_64 0
		.amdhsa_float_denorm_mode_32 3
		.amdhsa_float_denorm_mode_16_64 3
		.amdhsa_fp16_overflow 0
		.amdhsa_memory_ordered 1
		.amdhsa_forward_progress 1
		.amdhsa_inst_pref_size 1
		.amdhsa_round_robin_scheduling 0
		.amdhsa_exception_fp_ieee_invalid_op 0
		.amdhsa_exception_fp_denorm_src 0
		.amdhsa_exception_fp_ieee_div_zero 0
		.amdhsa_exception_fp_ieee_overflow 0
		.amdhsa_exception_fp_ieee_underflow 0
		.amdhsa_exception_fp_ieee_inexact 0
		.amdhsa_exception_int_div_zero 0
	.end_amdhsa_kernel
	.section	.text._ZN9rocsolver6v33100L16mfma_gemm_kernelI19rocblas_complex_numIdEiS3_PS3_S4_PKS4_EEv18rocblas_operation_S7_T0_S8_S8_T1_T2_lS8_S8_lT3_lS8_S8_lS9_T4_lS8_S8_l,"axG",@progbits,_ZN9rocsolver6v33100L16mfma_gemm_kernelI19rocblas_complex_numIdEiS3_PS3_S4_PKS4_EEv18rocblas_operation_S7_T0_S8_S8_T1_T2_lS8_S8_lT3_lS8_S8_lS9_T4_lS8_S8_l,comdat
.Lfunc_end30:
	.size	_ZN9rocsolver6v33100L16mfma_gemm_kernelI19rocblas_complex_numIdEiS3_PS3_S4_PKS4_EEv18rocblas_operation_S7_T0_S8_S8_T1_T2_lS8_S8_lT3_lS8_S8_lS9_T4_lS8_S8_l, .Lfunc_end30-_ZN9rocsolver6v33100L16mfma_gemm_kernelI19rocblas_complex_numIdEiS3_PS3_S4_PKS4_EEv18rocblas_operation_S7_T0_S8_S8_T1_T2_lS8_S8_lT3_lS8_S8_lS9_T4_lS8_S8_l
                                        ; -- End function
	.set _ZN9rocsolver6v33100L16mfma_gemm_kernelI19rocblas_complex_numIdEiS3_PS3_S4_PKS4_EEv18rocblas_operation_S7_T0_S8_S8_T1_T2_lS8_S8_lT3_lS8_S8_lS9_T4_lS8_S8_l.num_vgpr, 0
	.set _ZN9rocsolver6v33100L16mfma_gemm_kernelI19rocblas_complex_numIdEiS3_PS3_S4_PKS4_EEv18rocblas_operation_S7_T0_S8_S8_T1_T2_lS8_S8_lT3_lS8_S8_lS9_T4_lS8_S8_l.num_agpr, 0
	.set _ZN9rocsolver6v33100L16mfma_gemm_kernelI19rocblas_complex_numIdEiS3_PS3_S4_PKS4_EEv18rocblas_operation_S7_T0_S8_S8_T1_T2_lS8_S8_lT3_lS8_S8_lS9_T4_lS8_S8_l.numbered_sgpr, 0
	.set _ZN9rocsolver6v33100L16mfma_gemm_kernelI19rocblas_complex_numIdEiS3_PS3_S4_PKS4_EEv18rocblas_operation_S7_T0_S8_S8_T1_T2_lS8_S8_lT3_lS8_S8_lS9_T4_lS8_S8_l.num_named_barrier, 0
	.set _ZN9rocsolver6v33100L16mfma_gemm_kernelI19rocblas_complex_numIdEiS3_PS3_S4_PKS4_EEv18rocblas_operation_S7_T0_S8_S8_T1_T2_lS8_S8_lT3_lS8_S8_lS9_T4_lS8_S8_l.private_seg_size, 0
	.set _ZN9rocsolver6v33100L16mfma_gemm_kernelI19rocblas_complex_numIdEiS3_PS3_S4_PKS4_EEv18rocblas_operation_S7_T0_S8_S8_T1_T2_lS8_S8_lT3_lS8_S8_lS9_T4_lS8_S8_l.uses_vcc, 0
	.set _ZN9rocsolver6v33100L16mfma_gemm_kernelI19rocblas_complex_numIdEiS3_PS3_S4_PKS4_EEv18rocblas_operation_S7_T0_S8_S8_T1_T2_lS8_S8_lT3_lS8_S8_lS9_T4_lS8_S8_l.uses_flat_scratch, 0
	.set _ZN9rocsolver6v33100L16mfma_gemm_kernelI19rocblas_complex_numIdEiS3_PS3_S4_PKS4_EEv18rocblas_operation_S7_T0_S8_S8_T1_T2_lS8_S8_lT3_lS8_S8_lS9_T4_lS8_S8_l.has_dyn_sized_stack, 0
	.set _ZN9rocsolver6v33100L16mfma_gemm_kernelI19rocblas_complex_numIdEiS3_PS3_S4_PKS4_EEv18rocblas_operation_S7_T0_S8_S8_T1_T2_lS8_S8_lT3_lS8_S8_lS9_T4_lS8_S8_l.has_recursion, 0
	.set _ZN9rocsolver6v33100L16mfma_gemm_kernelI19rocblas_complex_numIdEiS3_PS3_S4_PKS4_EEv18rocblas_operation_S7_T0_S8_S8_T1_T2_lS8_S8_lT3_lS8_S8_lS9_T4_lS8_S8_l.has_indirect_call, 0
	.section	.AMDGPU.csdata,"",@progbits
; Kernel info:
; codeLenInByte = 4
; TotalNumSgprs: 0
; NumVgprs: 0
; ScratchSize: 0
; MemoryBound: 0
; FloatMode: 240
; IeeeMode: 1
; LDSByteSize: 0 bytes/workgroup (compile time only)
; SGPRBlocks: 0
; VGPRBlocks: 0
; NumSGPRsForWavesPerEU: 1
; NumVGPRsForWavesPerEU: 1
; NamedBarCnt: 0
; Occupancy: 16
; WaveLimiterHint : 0
; COMPUTE_PGM_RSRC2:SCRATCH_EN: 0
; COMPUTE_PGM_RSRC2:USER_SGPR: 2
; COMPUTE_PGM_RSRC2:TRAP_HANDLER: 0
; COMPUTE_PGM_RSRC2:TGID_X_EN: 1
; COMPUTE_PGM_RSRC2:TGID_Y_EN: 0
; COMPUTE_PGM_RSRC2:TGID_Z_EN: 0
; COMPUTE_PGM_RSRC2:TIDIG_COMP_CNT: 0
	.section	.text._ZN9rocsolver6v33100L11gemm_kernelI19rocblas_complex_numIdEiPKS3_PS3_S6_PKS6_EEvT0_S9_S9_T1_bT2_lS9_S9_lbT3_lS9_S9_lSA_T4_lS9_S9_l,"axG",@progbits,_ZN9rocsolver6v33100L11gemm_kernelI19rocblas_complex_numIdEiPKS3_PS3_S6_PKS6_EEvT0_S9_S9_T1_bT2_lS9_S9_lbT3_lS9_S9_lSA_T4_lS9_S9_l,comdat
	.globl	_ZN9rocsolver6v33100L11gemm_kernelI19rocblas_complex_numIdEiPKS3_PS3_S6_PKS6_EEvT0_S9_S9_T1_bT2_lS9_S9_lbT3_lS9_S9_lSA_T4_lS9_S9_l ; -- Begin function _ZN9rocsolver6v33100L11gemm_kernelI19rocblas_complex_numIdEiPKS3_PS3_S6_PKS6_EEvT0_S9_S9_T1_bT2_lS9_S9_lbT3_lS9_S9_lSA_T4_lS9_S9_l
	.p2align	8
	.type	_ZN9rocsolver6v33100L11gemm_kernelI19rocblas_complex_numIdEiPKS3_PS3_S6_PKS6_EEvT0_S9_S9_T1_bT2_lS9_S9_lbT3_lS9_S9_lSA_T4_lS9_S9_l,@function
_ZN9rocsolver6v33100L11gemm_kernelI19rocblas_complex_numIdEiPKS3_PS3_S6_PKS6_EEvT0_S9_S9_T1_bT2_lS9_S9_lbT3_lS9_S9_lSA_T4_lS9_S9_l: ; @_ZN9rocsolver6v33100L11gemm_kernelI19rocblas_complex_numIdEiPKS3_PS3_S6_PKS6_EEvT0_S9_S9_T1_bT2_lS9_S9_lbT3_lS9_S9_lSA_T4_lS9_S9_l
; %bb.0:
	s_clause 0x1
	s_load_b32 s2, s[0:1], 0x9c
	s_load_b96 s[20:22], s[0:1], 0x0
	s_bfe_u32 s5, ttmp6, 0x40010
	s_bfe_u32 s8, ttmp6, 0x4000c
	s_and_b32 s4, ttmp7, 0xffff
	s_add_co_i32 s5, s5, 1
	s_add_co_i32 s8, s8, 1
	s_bfe_u32 s6, ttmp6, 0x40004
	s_and_b32 s7, ttmp6, 15
	s_mul_i32 s5, s4, s5
	s_mul_i32 s8, ttmp9, s8
	s_getreg_b32 s3, hwreg(HW_REG_IB_STS2, 6, 4)
	v_and_b32_e32 v1, 0x3ff, v0
	v_bfe_u32 v0, v0, 10, 10
	s_add_co_i32 s6, s6, s5
	s_add_co_i32 s7, s7, s8
	s_wait_kmcnt 0x0
	s_lshr_b32 s5, s2, 16
	s_and_b32 s2, s2, 0xffff
	s_cmp_eq_u32 s3, 0
	s_cselect_b32 s7, ttmp9, s7
	s_cselect_b32 s4, s4, s6
	v_mad_u32 v8, s7, s2, v1
	v_mad_u32 v9, s4, s5, v0
	s_delay_alu instid0(VALU_DEP_2) | instskip(NEXT) | instid1(VALU_DEP_2)
	v_cmp_gt_i32_e32 vcc_lo, s20, v8
	v_cmp_gt_i32_e64 s2, s21, v9
	s_mov_b32 s21, 0
	s_and_b32 s2, vcc_lo, s2
	s_delay_alu instid0(SALU_CYCLE_1)
	s_and_saveexec_b32 s4, s2
	s_cbranch_execz .LBB31_6
; %bb.1:
	s_clause 0x1
	s_load_b64 s[24:25], s[0:1], 0x10
	s_load_b256 s[4:11], s[0:1], 0x60
	s_bfe_u32 s2, ttmp6, 0x40014
	s_lshr_b32 s12, ttmp7, 16
	s_add_co_i32 s2, s2, 1
	s_bfe_u32 s13, ttmp6, 0x40008
	s_mul_i32 s2, s12, s2
	s_delay_alu instid0(SALU_CYCLE_1)
	s_add_co_i32 s13, s13, s2
	s_cmp_eq_u32 s3, 0
	s_cselect_b32 s20, s12, s13
	s_cmp_lt_i32 s22, 1
	s_cbranch_scc1 .LBB31_4
; %bb.2:
	s_clause 0x4
	s_load_b32 s2, s[0:1], 0x18
	s_load_b256 s[12:19], s[0:1], 0x20
	s_load_b64 s[26:27], s[0:1], 0x58
	s_load_b32 s3, s[0:1], 0x40
	s_load_b128 s[28:31], s[0:1], 0x48
	s_wait_kmcnt 0x0
	s_mul_u64 s[4:5], s[4:5], s[20:21]
	s_bitcmp1_b32 s2, 0
	v_mul_lo_u32 v0, v8, s16
	v_mul_lo_u32 v2, v9, s27
	s_cselect_b32 vcc_lo, -1, 0
	s_bitcmp1_b32 s3, 0
	s_mul_u64 s[18:19], s[18:19], s[20:21]
	s_cselect_b32 s2, -1, 0
	s_lshl_b64 s[18:19], s[18:19], 4
	s_lshl_b64 s[14:15], s[14:15], 4
	;; [unrolled: 1-line block ×4, first 2 shown]
	s_add_nc_u64 s[14:15], s[18:19], s[14:15]
	s_delay_alu instid0(VALU_DEP_1) | instskip(SKIP_3) | instid1(VALU_DEP_1)
	v_dual_ashrrev_i32 v1, 31, v0 :: v_dual_ashrrev_i32 v3, 31, v2
	s_add_nc_u64 s[4:5], s[4:5], s[30:31]
	s_add_nc_u64 s[12:13], s[12:13], s[14:15]
	;; [unrolled: 1-line block ×3, first 2 shown]
	v_lshl_add_u64 v[4:5], v[0:1], 4, s[12:13]
	v_lshl_add_u64 v[2:3], v[2:3], 4, s[4:5]
	v_mov_b64_e32 v[0:1], 0
	s_ashr_i32 s5, s17, 31
	s_mov_b32 s4, s17
	v_add_nc_u64_e32 v[4:5], 8, v[4:5]
	v_add_nc_u64_e32 v[6:7], 8, v[2:3]
	v_mov_b64_e32 v[2:3], 0
	s_ashr_i32 s27, s26, 31
	s_lshl_b64 s[4:5], s[4:5], 4
	s_lshl_b64 s[12:13], s[26:27], 4
.LBB31_3:                               ; =>This Inner Loop Header: Depth=1
	global_load_b128 v[10:13], v[4:5], off offset:-8
	global_load_b128 v[14:17], v[6:7], off offset:-8
	s_wait_xcnt 0x1
	v_add_nc_u64_e32 v[4:5], s[4:5], v[4:5]
	s_wait_xcnt 0x0
	v_add_nc_u64_e32 v[6:7], s[12:13], v[6:7]
	s_add_co_i32 s22, s22, -1
	s_delay_alu instid0(SALU_CYCLE_1) | instskip(SKIP_4) | instid1(VALU_DEP_2)
	s_cmp_eq_u32 s22, 0
	s_wait_loadcnt 0x1
	v_xor_b32_e32 v18, 0x80000000, v13
	s_wait_loadcnt 0x0
	v_xor_b32_e32 v19, 0x80000000, v17
	v_cndmask_b32_e32 v13, v13, v18, vcc_lo
	s_delay_alu instid0(VALU_DEP_2) | instskip(NEXT) | instid1(VALU_DEP_1)
	v_cndmask_b32_e64 v17, v17, v19, s2
	v_mul_f64_e32 v[18:19], v[12:13], v[16:17]
	v_mul_f64_e32 v[12:13], v[12:13], v[14:15]
	s_delay_alu instid0(VALU_DEP_2) | instskip(NEXT) | instid1(VALU_DEP_2)
	v_fma_f64 v[14:15], v[10:11], v[14:15], -v[18:19]
	v_fmac_f64_e32 v[12:13], v[10:11], v[16:17]
	s_delay_alu instid0(VALU_DEP_2) | instskip(NEXT) | instid1(VALU_DEP_2)
	v_add_f64_e32 v[2:3], v[2:3], v[14:15]
	v_add_f64_e32 v[0:1], v[0:1], v[12:13]
	s_cbranch_scc0 .LBB31_3
	s_branch .LBB31_5
.LBB31_4:
	v_mov_b64_e32 v[0:1], 0
	v_mov_b64_e32 v[2:3], 0
.LBB31_5:
	s_wait_kmcnt 0x0
	s_load_b128 s[16:19], s[24:25], 0x0
	s_load_b128 s[12:15], s[6:7], 0x0
	s_load_b64 s[2:3], s[8:9], s20 offset:0x0 scale_offset
                                        ; kill: killed $sgpr24_sgpr25
                                        ; kill: killed $sgpr20
                                        ; kill: killed $sgpr6_sgpr7 killed $sgpr8_sgpr9
	s_nop 0
	s_load_b64 s[0:1], s[0:1], 0x80
	s_wait_kmcnt 0x0
	s_delay_alu instid0(VALU_DEP_1) | instskip(SKIP_1) | instid1(VALU_DEP_1)
	v_mul_f64_e32 v[10:11], s[16:17], v[0:1]
	v_mul_lo_u32 v4, v8, s0
	v_mad_u32 v12, v9, s1, v4
	s_lshl_b64 s[0:1], s[10:11], 4
	v_mul_f64_e32 v[8:9], s[18:19], v[0:1]
	s_add_nc_u64 s[0:1], s[2:3], s[0:1]
	flat_load_b128 v[4:7], v12, s[0:1] scale_offset
	v_fmac_f64_e32 v[10:11], s[18:19], v[2:3]
	v_fma_f64 v[8:9], s[16:17], v[2:3], -v[8:9]
	s_wait_loadcnt_dscnt 0x0
	v_mul_f64_e32 v[0:1], s[14:15], v[6:7]
	v_mul_f64_e32 v[6:7], s[12:13], v[6:7]
	s_delay_alu instid0(VALU_DEP_2) | instskip(NEXT) | instid1(VALU_DEP_2)
	v_fma_f64 v[0:1], s[12:13], v[4:5], -v[0:1]
	v_fmac_f64_e32 v[6:7], s[14:15], v[4:5]
	s_delay_alu instid0(VALU_DEP_2) | instskip(NEXT) | instid1(VALU_DEP_2)
	v_add_f64_e32 v[0:1], v[8:9], v[0:1]
	v_add_f64_e32 v[2:3], v[10:11], v[6:7]
	flat_store_b128 v12, v[0:3], s[0:1] scale_offset
.LBB31_6:
	s_endpgm
	.section	.rodata,"a",@progbits
	.p2align	6, 0x0
	.amdhsa_kernel _ZN9rocsolver6v33100L11gemm_kernelI19rocblas_complex_numIdEiPKS3_PS3_S6_PKS6_EEvT0_S9_S9_T1_bT2_lS9_S9_lbT3_lS9_S9_lSA_T4_lS9_S9_l
		.amdhsa_group_segment_fixed_size 0
		.amdhsa_private_segment_fixed_size 0
		.amdhsa_kernarg_size 400
		.amdhsa_user_sgpr_count 2
		.amdhsa_user_sgpr_dispatch_ptr 0
		.amdhsa_user_sgpr_queue_ptr 0
		.amdhsa_user_sgpr_kernarg_segment_ptr 1
		.amdhsa_user_sgpr_dispatch_id 0
		.amdhsa_user_sgpr_kernarg_preload_length 0
		.amdhsa_user_sgpr_kernarg_preload_offset 0
		.amdhsa_user_sgpr_private_segment_size 0
		.amdhsa_wavefront_size32 1
		.amdhsa_uses_dynamic_stack 0
		.amdhsa_enable_private_segment 0
		.amdhsa_system_sgpr_workgroup_id_x 1
		.amdhsa_system_sgpr_workgroup_id_y 1
		.amdhsa_system_sgpr_workgroup_id_z 1
		.amdhsa_system_sgpr_workgroup_info 0
		.amdhsa_system_vgpr_workitem_id 1
		.amdhsa_next_free_vgpr 20
		.amdhsa_next_free_sgpr 32
		.amdhsa_named_barrier_count 0
		.amdhsa_reserve_vcc 1
		.amdhsa_float_round_mode_32 0
		.amdhsa_float_round_mode_16_64 0
		.amdhsa_float_denorm_mode_32 3
		.amdhsa_float_denorm_mode_16_64 3
		.amdhsa_fp16_overflow 0
		.amdhsa_memory_ordered 1
		.amdhsa_forward_progress 1
		.amdhsa_inst_pref_size 6
		.amdhsa_round_robin_scheduling 0
		.amdhsa_exception_fp_ieee_invalid_op 0
		.amdhsa_exception_fp_denorm_src 0
		.amdhsa_exception_fp_ieee_div_zero 0
		.amdhsa_exception_fp_ieee_overflow 0
		.amdhsa_exception_fp_ieee_underflow 0
		.amdhsa_exception_fp_ieee_inexact 0
		.amdhsa_exception_int_div_zero 0
	.end_amdhsa_kernel
	.section	.text._ZN9rocsolver6v33100L11gemm_kernelI19rocblas_complex_numIdEiPKS3_PS3_S6_PKS6_EEvT0_S9_S9_T1_bT2_lS9_S9_lbT3_lS9_S9_lSA_T4_lS9_S9_l,"axG",@progbits,_ZN9rocsolver6v33100L11gemm_kernelI19rocblas_complex_numIdEiPKS3_PS3_S6_PKS6_EEvT0_S9_S9_T1_bT2_lS9_S9_lbT3_lS9_S9_lSA_T4_lS9_S9_l,comdat
.Lfunc_end31:
	.size	_ZN9rocsolver6v33100L11gemm_kernelI19rocblas_complex_numIdEiPKS3_PS3_S6_PKS6_EEvT0_S9_S9_T1_bT2_lS9_S9_lbT3_lS9_S9_lSA_T4_lS9_S9_l, .Lfunc_end31-_ZN9rocsolver6v33100L11gemm_kernelI19rocblas_complex_numIdEiPKS3_PS3_S6_PKS6_EEvT0_S9_S9_T1_bT2_lS9_S9_lbT3_lS9_S9_lSA_T4_lS9_S9_l
                                        ; -- End function
	.set _ZN9rocsolver6v33100L11gemm_kernelI19rocblas_complex_numIdEiPKS3_PS3_S6_PKS6_EEvT0_S9_S9_T1_bT2_lS9_S9_lbT3_lS9_S9_lSA_T4_lS9_S9_l.num_vgpr, 20
	.set _ZN9rocsolver6v33100L11gemm_kernelI19rocblas_complex_numIdEiPKS3_PS3_S6_PKS6_EEvT0_S9_S9_T1_bT2_lS9_S9_lbT3_lS9_S9_lSA_T4_lS9_S9_l.num_agpr, 0
	.set _ZN9rocsolver6v33100L11gemm_kernelI19rocblas_complex_numIdEiPKS3_PS3_S6_PKS6_EEvT0_S9_S9_T1_bT2_lS9_S9_lbT3_lS9_S9_lSA_T4_lS9_S9_l.numbered_sgpr, 32
	.set _ZN9rocsolver6v33100L11gemm_kernelI19rocblas_complex_numIdEiPKS3_PS3_S6_PKS6_EEvT0_S9_S9_T1_bT2_lS9_S9_lbT3_lS9_S9_lSA_T4_lS9_S9_l.num_named_barrier, 0
	.set _ZN9rocsolver6v33100L11gemm_kernelI19rocblas_complex_numIdEiPKS3_PS3_S6_PKS6_EEvT0_S9_S9_T1_bT2_lS9_S9_lbT3_lS9_S9_lSA_T4_lS9_S9_l.private_seg_size, 0
	.set _ZN9rocsolver6v33100L11gemm_kernelI19rocblas_complex_numIdEiPKS3_PS3_S6_PKS6_EEvT0_S9_S9_T1_bT2_lS9_S9_lbT3_lS9_S9_lSA_T4_lS9_S9_l.uses_vcc, 1
	.set _ZN9rocsolver6v33100L11gemm_kernelI19rocblas_complex_numIdEiPKS3_PS3_S6_PKS6_EEvT0_S9_S9_T1_bT2_lS9_S9_lbT3_lS9_S9_lSA_T4_lS9_S9_l.uses_flat_scratch, 0
	.set _ZN9rocsolver6v33100L11gemm_kernelI19rocblas_complex_numIdEiPKS3_PS3_S6_PKS6_EEvT0_S9_S9_T1_bT2_lS9_S9_lbT3_lS9_S9_lSA_T4_lS9_S9_l.has_dyn_sized_stack, 0
	.set _ZN9rocsolver6v33100L11gemm_kernelI19rocblas_complex_numIdEiPKS3_PS3_S6_PKS6_EEvT0_S9_S9_T1_bT2_lS9_S9_lbT3_lS9_S9_lSA_T4_lS9_S9_l.has_recursion, 0
	.set _ZN9rocsolver6v33100L11gemm_kernelI19rocblas_complex_numIdEiPKS3_PS3_S6_PKS6_EEvT0_S9_S9_T1_bT2_lS9_S9_lbT3_lS9_S9_lSA_T4_lS9_S9_l.has_indirect_call, 0
	.section	.AMDGPU.csdata,"",@progbits
; Kernel info:
; codeLenInByte = 744
; TotalNumSgprs: 34
; NumVgprs: 20
; ScratchSize: 0
; MemoryBound: 0
; FloatMode: 240
; IeeeMode: 1
; LDSByteSize: 0 bytes/workgroup (compile time only)
; SGPRBlocks: 0
; VGPRBlocks: 1
; NumSGPRsForWavesPerEU: 34
; NumVGPRsForWavesPerEU: 20
; NamedBarCnt: 0
; Occupancy: 16
; WaveLimiterHint : 1
; COMPUTE_PGM_RSRC2:SCRATCH_EN: 0
; COMPUTE_PGM_RSRC2:USER_SGPR: 2
; COMPUTE_PGM_RSRC2:TRAP_HANDLER: 0
; COMPUTE_PGM_RSRC2:TGID_X_EN: 1
; COMPUTE_PGM_RSRC2:TGID_Y_EN: 1
; COMPUTE_PGM_RSRC2:TGID_Z_EN: 1
; COMPUTE_PGM_RSRC2:TIDIG_COMP_CNT: 1
	.section	.text._ZN9rocsolver6v33100L11gemm_kernelI19rocblas_complex_numIdEiS3_PS3_S4_PKS4_EEvT0_S7_S7_T1_bT2_lS7_S7_lbT3_lS7_S7_lS8_T4_lS7_S7_l,"axG",@progbits,_ZN9rocsolver6v33100L11gemm_kernelI19rocblas_complex_numIdEiS3_PS3_S4_PKS4_EEvT0_S7_S7_T1_bT2_lS7_S7_lbT3_lS7_S7_lS8_T4_lS7_S7_l,comdat
	.globl	_ZN9rocsolver6v33100L11gemm_kernelI19rocblas_complex_numIdEiS3_PS3_S4_PKS4_EEvT0_S7_S7_T1_bT2_lS7_S7_lbT3_lS7_S7_lS8_T4_lS7_S7_l ; -- Begin function _ZN9rocsolver6v33100L11gemm_kernelI19rocblas_complex_numIdEiS3_PS3_S4_PKS4_EEvT0_S7_S7_T1_bT2_lS7_S7_lbT3_lS7_S7_lS8_T4_lS7_S7_l
	.p2align	8
	.type	_ZN9rocsolver6v33100L11gemm_kernelI19rocblas_complex_numIdEiS3_PS3_S4_PKS4_EEvT0_S7_S7_T1_bT2_lS7_S7_lbT3_lS7_S7_lS8_T4_lS7_S7_l,@function
_ZN9rocsolver6v33100L11gemm_kernelI19rocblas_complex_numIdEiS3_PS3_S4_PKS4_EEvT0_S7_S7_T1_bT2_lS7_S7_lbT3_lS7_S7_lS8_T4_lS7_S7_l: ; @_ZN9rocsolver6v33100L11gemm_kernelI19rocblas_complex_numIdEiS3_PS3_S4_PKS4_EEvT0_S7_S7_T1_bT2_lS7_S7_lbT3_lS7_S7_lS8_T4_lS7_S7_l
; %bb.0:
	s_clause 0x1
	s_load_b32 s2, s[0:1], 0xac
	s_load_b96 s[20:22], s[0:1], 0x0
	s_bfe_u32 s5, ttmp6, 0x40010
	s_bfe_u32 s8, ttmp6, 0x4000c
	s_and_b32 s4, ttmp7, 0xffff
	s_add_co_i32 s5, s5, 1
	s_add_co_i32 s8, s8, 1
	s_bfe_u32 s6, ttmp6, 0x40004
	s_and_b32 s7, ttmp6, 15
	s_mul_i32 s5, s4, s5
	s_mul_i32 s8, ttmp9, s8
	s_getreg_b32 s3, hwreg(HW_REG_IB_STS2, 6, 4)
	v_and_b32_e32 v1, 0x3ff, v0
	v_bfe_u32 v0, v0, 10, 10
	s_add_co_i32 s6, s6, s5
	s_add_co_i32 s7, s7, s8
	s_mov_b32 s25, 0
	s_wait_kmcnt 0x0
	s_lshr_b32 s5, s2, 16
	s_and_b32 s2, s2, 0xffff
	s_cmp_eq_u32 s3, 0
	s_cselect_b32 s7, ttmp9, s7
	s_cselect_b32 s4, s4, s6
	v_mad_u32 v8, s7, s2, v1
	v_mad_u32 v9, s4, s5, v0
	s_delay_alu instid0(VALU_DEP_2) | instskip(NEXT) | instid1(VALU_DEP_2)
	v_cmp_gt_i32_e32 vcc_lo, s20, v8
	v_cmp_gt_i32_e64 s2, s21, v9
	s_and_b32 s2, vcc_lo, s2
	s_delay_alu instid0(SALU_CYCLE_1)
	s_and_saveexec_b32 s4, s2
	s_cbranch_execz .LBB32_6
; %bb.1:
	s_clause 0x1
	s_load_b64 s[20:21], s[0:1], 0x88
	s_load_b256 s[4:11], s[0:1], 0x68
	s_bfe_u32 s2, ttmp6, 0x40014
	s_lshr_b32 s12, ttmp7, 16
	s_add_co_i32 s2, s2, 1
	s_bfe_u32 s13, ttmp6, 0x40008
	s_mul_i32 s2, s12, s2
	s_delay_alu instid0(SALU_CYCLE_1)
	s_add_co_i32 s13, s13, s2
	s_cmp_eq_u32 s3, 0
	s_cselect_b32 s24, s12, s13
	s_cmp_lt_i32 s22, 1
	s_cbranch_scc1 .LBB32_4
; %bb.2:
	s_clause 0x4
	s_load_b32 s2, s[0:1], 0x20
	s_load_b256 s[12:19], s[0:1], 0x28
	s_load_b64 s[26:27], s[0:1], 0x60
	s_load_b32 s3, s[0:1], 0x48
	s_load_b128 s[28:31], s[0:1], 0x50
	s_wait_kmcnt 0x0
	s_mul_u64 s[4:5], s[4:5], s[24:25]
	s_bitcmp1_b32 s2, 0
	v_mul_lo_u32 v0, v8, s16
	v_mul_lo_u32 v2, v9, s27
	s_cselect_b32 vcc_lo, -1, 0
	s_bitcmp1_b32 s3, 0
	s_mul_u64 s[18:19], s[18:19], s[24:25]
	s_cselect_b32 s2, -1, 0
	s_lshl_b64 s[18:19], s[18:19], 4
	s_lshl_b64 s[14:15], s[14:15], 4
	;; [unrolled: 1-line block ×4, first 2 shown]
	s_add_nc_u64 s[14:15], s[18:19], s[14:15]
	s_delay_alu instid0(VALU_DEP_1) | instskip(SKIP_3) | instid1(VALU_DEP_1)
	v_dual_ashrrev_i32 v1, 31, v0 :: v_dual_ashrrev_i32 v3, 31, v2
	s_add_nc_u64 s[4:5], s[4:5], s[30:31]
	s_add_nc_u64 s[12:13], s[12:13], s[14:15]
	;; [unrolled: 1-line block ×3, first 2 shown]
	v_lshl_add_u64 v[4:5], v[0:1], 4, s[12:13]
	v_lshl_add_u64 v[2:3], v[2:3], 4, s[4:5]
	v_mov_b64_e32 v[0:1], 0
	s_ashr_i32 s5, s17, 31
	s_mov_b32 s4, s17
	v_add_nc_u64_e32 v[4:5], 8, v[4:5]
	v_add_nc_u64_e32 v[6:7], 8, v[2:3]
	v_mov_b64_e32 v[2:3], 0
	s_ashr_i32 s27, s26, 31
	s_lshl_b64 s[4:5], s[4:5], 4
	s_lshl_b64 s[12:13], s[26:27], 4
.LBB32_3:                               ; =>This Inner Loop Header: Depth=1
	global_load_b128 v[10:13], v[4:5], off offset:-8
	global_load_b128 v[14:17], v[6:7], off offset:-8
	s_wait_xcnt 0x1
	v_add_nc_u64_e32 v[4:5], s[4:5], v[4:5]
	s_wait_xcnt 0x0
	v_add_nc_u64_e32 v[6:7], s[12:13], v[6:7]
	s_add_co_i32 s22, s22, -1
	s_delay_alu instid0(SALU_CYCLE_1) | instskip(SKIP_4) | instid1(VALU_DEP_2)
	s_cmp_eq_u32 s22, 0
	s_wait_loadcnt 0x1
	v_xor_b32_e32 v18, 0x80000000, v13
	s_wait_loadcnt 0x0
	v_xor_b32_e32 v19, 0x80000000, v17
	v_cndmask_b32_e32 v13, v13, v18, vcc_lo
	s_delay_alu instid0(VALU_DEP_2) | instskip(NEXT) | instid1(VALU_DEP_1)
	v_cndmask_b32_e64 v17, v17, v19, s2
	v_mul_f64_e32 v[18:19], v[12:13], v[16:17]
	v_mul_f64_e32 v[12:13], v[12:13], v[14:15]
	s_delay_alu instid0(VALU_DEP_2) | instskip(NEXT) | instid1(VALU_DEP_2)
	v_fma_f64 v[14:15], v[10:11], v[14:15], -v[18:19]
	v_fmac_f64_e32 v[12:13], v[10:11], v[16:17]
	s_delay_alu instid0(VALU_DEP_2) | instskip(NEXT) | instid1(VALU_DEP_2)
	v_add_f64_e32 v[2:3], v[2:3], v[14:15]
	v_add_f64_e32 v[0:1], v[0:1], v[12:13]
	s_cbranch_scc0 .LBB32_3
	s_branch .LBB32_5
.LBB32_4:
	v_mov_b64_e32 v[0:1], 0
	v_mov_b64_e32 v[2:3], 0
.LBB32_5:
	s_load_b128 s[12:15], s[0:1], 0x10
	s_wait_kmcnt 0x0
	s_load_b64 s[2:3], s[10:11], s24 offset:0x0 scale_offset
                                        ; kill: killed $sgpr10_sgpr11
                                        ; kill: killed $sgpr24
	s_nop 0
	s_load_b64 s[0:1], s[0:1], 0x90
	s_delay_alu instid0(VALU_DEP_1) | instskip(SKIP_2) | instid1(VALU_DEP_1)
	v_mul_f64_e32 v[10:11], s[12:13], v[0:1]
	s_wait_kmcnt 0x0
	v_mul_lo_u32 v4, v8, s0
	v_mad_u32 v12, v9, s1, v4
	s_lshl_b64 s[0:1], s[20:21], 4
	v_mul_f64_e32 v[8:9], s[14:15], v[0:1]
	s_add_nc_u64 s[0:1], s[2:3], s[0:1]
	flat_load_b128 v[4:7], v12, s[0:1] scale_offset
	v_fmac_f64_e32 v[10:11], s[14:15], v[2:3]
	v_fma_f64 v[8:9], s[12:13], v[2:3], -v[8:9]
	s_wait_loadcnt_dscnt 0x0
	v_mul_f64_e32 v[0:1], s[8:9], v[6:7]
	v_mul_f64_e32 v[6:7], s[6:7], v[6:7]
	s_delay_alu instid0(VALU_DEP_2) | instskip(NEXT) | instid1(VALU_DEP_2)
	v_fma_f64 v[0:1], s[6:7], v[4:5], -v[0:1]
	v_fmac_f64_e32 v[6:7], s[8:9], v[4:5]
	s_delay_alu instid0(VALU_DEP_2) | instskip(NEXT) | instid1(VALU_DEP_2)
	v_add_f64_e32 v[0:1], v[8:9], v[0:1]
	v_add_f64_e32 v[2:3], v[10:11], v[6:7]
	flat_store_b128 v12, v[0:3], s[0:1] scale_offset
.LBB32_6:
	s_endpgm
	.section	.rodata,"a",@progbits
	.p2align	6, 0x0
	.amdhsa_kernel _ZN9rocsolver6v33100L11gemm_kernelI19rocblas_complex_numIdEiS3_PS3_S4_PKS4_EEvT0_S7_S7_T1_bT2_lS7_S7_lbT3_lS7_S7_lS8_T4_lS7_S7_l
		.amdhsa_group_segment_fixed_size 0
		.amdhsa_private_segment_fixed_size 0
		.amdhsa_kernarg_size 416
		.amdhsa_user_sgpr_count 2
		.amdhsa_user_sgpr_dispatch_ptr 0
		.amdhsa_user_sgpr_queue_ptr 0
		.amdhsa_user_sgpr_kernarg_segment_ptr 1
		.amdhsa_user_sgpr_dispatch_id 0
		.amdhsa_user_sgpr_kernarg_preload_length 0
		.amdhsa_user_sgpr_kernarg_preload_offset 0
		.amdhsa_user_sgpr_private_segment_size 0
		.amdhsa_wavefront_size32 1
		.amdhsa_uses_dynamic_stack 0
		.amdhsa_enable_private_segment 0
		.amdhsa_system_sgpr_workgroup_id_x 1
		.amdhsa_system_sgpr_workgroup_id_y 1
		.amdhsa_system_sgpr_workgroup_id_z 1
		.amdhsa_system_sgpr_workgroup_info 0
		.amdhsa_system_vgpr_workitem_id 1
		.amdhsa_next_free_vgpr 20
		.amdhsa_next_free_sgpr 32
		.amdhsa_named_barrier_count 0
		.amdhsa_reserve_vcc 1
		.amdhsa_float_round_mode_32 0
		.amdhsa_float_round_mode_16_64 0
		.amdhsa_float_denorm_mode_32 3
		.amdhsa_float_denorm_mode_16_64 3
		.amdhsa_fp16_overflow 0
		.amdhsa_memory_ordered 1
		.amdhsa_forward_progress 1
		.amdhsa_inst_pref_size 6
		.amdhsa_round_robin_scheduling 0
		.amdhsa_exception_fp_ieee_invalid_op 0
		.amdhsa_exception_fp_denorm_src 0
		.amdhsa_exception_fp_ieee_div_zero 0
		.amdhsa_exception_fp_ieee_overflow 0
		.amdhsa_exception_fp_ieee_underflow 0
		.amdhsa_exception_fp_ieee_inexact 0
		.amdhsa_exception_int_div_zero 0
	.end_amdhsa_kernel
	.section	.text._ZN9rocsolver6v33100L11gemm_kernelI19rocblas_complex_numIdEiS3_PS3_S4_PKS4_EEvT0_S7_S7_T1_bT2_lS7_S7_lbT3_lS7_S7_lS8_T4_lS7_S7_l,"axG",@progbits,_ZN9rocsolver6v33100L11gemm_kernelI19rocblas_complex_numIdEiS3_PS3_S4_PKS4_EEvT0_S7_S7_T1_bT2_lS7_S7_lbT3_lS7_S7_lS8_T4_lS7_S7_l,comdat
.Lfunc_end32:
	.size	_ZN9rocsolver6v33100L11gemm_kernelI19rocblas_complex_numIdEiS3_PS3_S4_PKS4_EEvT0_S7_S7_T1_bT2_lS7_S7_lbT3_lS7_S7_lS8_T4_lS7_S7_l, .Lfunc_end32-_ZN9rocsolver6v33100L11gemm_kernelI19rocblas_complex_numIdEiS3_PS3_S4_PKS4_EEvT0_S7_S7_T1_bT2_lS7_S7_lbT3_lS7_S7_lS8_T4_lS7_S7_l
                                        ; -- End function
	.set _ZN9rocsolver6v33100L11gemm_kernelI19rocblas_complex_numIdEiS3_PS3_S4_PKS4_EEvT0_S7_S7_T1_bT2_lS7_S7_lbT3_lS7_S7_lS8_T4_lS7_S7_l.num_vgpr, 20
	.set _ZN9rocsolver6v33100L11gemm_kernelI19rocblas_complex_numIdEiS3_PS3_S4_PKS4_EEvT0_S7_S7_T1_bT2_lS7_S7_lbT3_lS7_S7_lS8_T4_lS7_S7_l.num_agpr, 0
	.set _ZN9rocsolver6v33100L11gemm_kernelI19rocblas_complex_numIdEiS3_PS3_S4_PKS4_EEvT0_S7_S7_T1_bT2_lS7_S7_lbT3_lS7_S7_lS8_T4_lS7_S7_l.numbered_sgpr, 32
	.set _ZN9rocsolver6v33100L11gemm_kernelI19rocblas_complex_numIdEiS3_PS3_S4_PKS4_EEvT0_S7_S7_T1_bT2_lS7_S7_lbT3_lS7_S7_lS8_T4_lS7_S7_l.num_named_barrier, 0
	.set _ZN9rocsolver6v33100L11gemm_kernelI19rocblas_complex_numIdEiS3_PS3_S4_PKS4_EEvT0_S7_S7_T1_bT2_lS7_S7_lbT3_lS7_S7_lS8_T4_lS7_S7_l.private_seg_size, 0
	.set _ZN9rocsolver6v33100L11gemm_kernelI19rocblas_complex_numIdEiS3_PS3_S4_PKS4_EEvT0_S7_S7_T1_bT2_lS7_S7_lbT3_lS7_S7_lS8_T4_lS7_S7_l.uses_vcc, 1
	.set _ZN9rocsolver6v33100L11gemm_kernelI19rocblas_complex_numIdEiS3_PS3_S4_PKS4_EEvT0_S7_S7_T1_bT2_lS7_S7_lbT3_lS7_S7_lS8_T4_lS7_S7_l.uses_flat_scratch, 0
	.set _ZN9rocsolver6v33100L11gemm_kernelI19rocblas_complex_numIdEiS3_PS3_S4_PKS4_EEvT0_S7_S7_T1_bT2_lS7_S7_lbT3_lS7_S7_lS8_T4_lS7_S7_l.has_dyn_sized_stack, 0
	.set _ZN9rocsolver6v33100L11gemm_kernelI19rocblas_complex_numIdEiS3_PS3_S4_PKS4_EEvT0_S7_S7_T1_bT2_lS7_S7_lbT3_lS7_S7_lS8_T4_lS7_S7_l.has_recursion, 0
	.set _ZN9rocsolver6v33100L11gemm_kernelI19rocblas_complex_numIdEiS3_PS3_S4_PKS4_EEvT0_S7_S7_T1_bT2_lS7_S7_lbT3_lS7_S7_lS8_T4_lS7_S7_l.has_indirect_call, 0
	.section	.AMDGPU.csdata,"",@progbits
; Kernel info:
; codeLenInByte = 736
; TotalNumSgprs: 34
; NumVgprs: 20
; ScratchSize: 0
; MemoryBound: 0
; FloatMode: 240
; IeeeMode: 1
; LDSByteSize: 0 bytes/workgroup (compile time only)
; SGPRBlocks: 0
; VGPRBlocks: 1
; NumSGPRsForWavesPerEU: 34
; NumVGPRsForWavesPerEU: 20
; NamedBarCnt: 0
; Occupancy: 16
; WaveLimiterHint : 1
; COMPUTE_PGM_RSRC2:SCRATCH_EN: 0
; COMPUTE_PGM_RSRC2:USER_SGPR: 2
; COMPUTE_PGM_RSRC2:TRAP_HANDLER: 0
; COMPUTE_PGM_RSRC2:TGID_X_EN: 1
; COMPUTE_PGM_RSRC2:TGID_Y_EN: 1
; COMPUTE_PGM_RSRC2:TGID_Z_EN: 1
; COMPUTE_PGM_RSRC2:TIDIG_COMP_CNT: 1
	.section	.text._ZN9rocsolver6v33100L16mfma_gemm_kernelI19rocblas_complex_numIdElPKS3_PS3_S6_S6_EEv18rocblas_operation_S7_T0_S8_S8_T1_T2_lS8_S8_lT3_lS8_S8_lS9_T4_lS8_S8_l,"axG",@progbits,_ZN9rocsolver6v33100L16mfma_gemm_kernelI19rocblas_complex_numIdElPKS3_PS3_S6_S6_EEv18rocblas_operation_S7_T0_S8_S8_T1_T2_lS8_S8_lT3_lS8_S8_lS9_T4_lS8_S8_l,comdat
	.globl	_ZN9rocsolver6v33100L16mfma_gemm_kernelI19rocblas_complex_numIdElPKS3_PS3_S6_S6_EEv18rocblas_operation_S7_T0_S8_S8_T1_T2_lS8_S8_lT3_lS8_S8_lS9_T4_lS8_S8_l ; -- Begin function _ZN9rocsolver6v33100L16mfma_gemm_kernelI19rocblas_complex_numIdElPKS3_PS3_S6_S6_EEv18rocblas_operation_S7_T0_S8_S8_T1_T2_lS8_S8_lT3_lS8_S8_lS9_T4_lS8_S8_l
	.p2align	8
	.type	_ZN9rocsolver6v33100L16mfma_gemm_kernelI19rocblas_complex_numIdElPKS3_PS3_S6_S6_EEv18rocblas_operation_S7_T0_S8_S8_T1_T2_lS8_S8_lT3_lS8_S8_lS9_T4_lS8_S8_l,@function
_ZN9rocsolver6v33100L16mfma_gemm_kernelI19rocblas_complex_numIdElPKS3_PS3_S6_S6_EEv18rocblas_operation_S7_T0_S8_S8_T1_T2_lS8_S8_lT3_lS8_S8_lS9_T4_lS8_S8_l: ; @_ZN9rocsolver6v33100L16mfma_gemm_kernelI19rocblas_complex_numIdElPKS3_PS3_S6_S6_EEv18rocblas_operation_S7_T0_S8_S8_T1_T2_lS8_S8_lT3_lS8_S8_lS9_T4_lS8_S8_l
; %bb.0:
	s_endpgm
	.section	.rodata,"a",@progbits
	.p2align	6, 0x0
	.amdhsa_kernel _ZN9rocsolver6v33100L16mfma_gemm_kernelI19rocblas_complex_numIdElPKS3_PS3_S6_S6_EEv18rocblas_operation_S7_T0_S8_S8_T1_T2_lS8_S8_lT3_lS8_S8_lS9_T4_lS8_S8_l
		.amdhsa_group_segment_fixed_size 0
		.amdhsa_private_segment_fixed_size 0
		.amdhsa_kernarg_size 168
		.amdhsa_user_sgpr_count 2
		.amdhsa_user_sgpr_dispatch_ptr 0
		.amdhsa_user_sgpr_queue_ptr 0
		.amdhsa_user_sgpr_kernarg_segment_ptr 1
		.amdhsa_user_sgpr_dispatch_id 0
		.amdhsa_user_sgpr_kernarg_preload_length 0
		.amdhsa_user_sgpr_kernarg_preload_offset 0
		.amdhsa_user_sgpr_private_segment_size 0
		.amdhsa_wavefront_size32 1
		.amdhsa_uses_dynamic_stack 0
		.amdhsa_enable_private_segment 0
		.amdhsa_system_sgpr_workgroup_id_x 1
		.amdhsa_system_sgpr_workgroup_id_y 0
		.amdhsa_system_sgpr_workgroup_id_z 0
		.amdhsa_system_sgpr_workgroup_info 0
		.amdhsa_system_vgpr_workitem_id 0
		.amdhsa_next_free_vgpr 1
		.amdhsa_next_free_sgpr 1
		.amdhsa_named_barrier_count 0
		.amdhsa_reserve_vcc 0
		.amdhsa_float_round_mode_32 0
		.amdhsa_float_round_mode_16_64 0
		.amdhsa_float_denorm_mode_32 3
		.amdhsa_float_denorm_mode_16_64 3
		.amdhsa_fp16_overflow 0
		.amdhsa_memory_ordered 1
		.amdhsa_forward_progress 1
		.amdhsa_inst_pref_size 1
		.amdhsa_round_robin_scheduling 0
		.amdhsa_exception_fp_ieee_invalid_op 0
		.amdhsa_exception_fp_denorm_src 0
		.amdhsa_exception_fp_ieee_div_zero 0
		.amdhsa_exception_fp_ieee_overflow 0
		.amdhsa_exception_fp_ieee_underflow 0
		.amdhsa_exception_fp_ieee_inexact 0
		.amdhsa_exception_int_div_zero 0
	.end_amdhsa_kernel
	.section	.text._ZN9rocsolver6v33100L16mfma_gemm_kernelI19rocblas_complex_numIdElPKS3_PS3_S6_S6_EEv18rocblas_operation_S7_T0_S8_S8_T1_T2_lS8_S8_lT3_lS8_S8_lS9_T4_lS8_S8_l,"axG",@progbits,_ZN9rocsolver6v33100L16mfma_gemm_kernelI19rocblas_complex_numIdElPKS3_PS3_S6_S6_EEv18rocblas_operation_S7_T0_S8_S8_T1_T2_lS8_S8_lT3_lS8_S8_lS9_T4_lS8_S8_l,comdat
.Lfunc_end33:
	.size	_ZN9rocsolver6v33100L16mfma_gemm_kernelI19rocblas_complex_numIdElPKS3_PS3_S6_S6_EEv18rocblas_operation_S7_T0_S8_S8_T1_T2_lS8_S8_lT3_lS8_S8_lS9_T4_lS8_S8_l, .Lfunc_end33-_ZN9rocsolver6v33100L16mfma_gemm_kernelI19rocblas_complex_numIdElPKS3_PS3_S6_S6_EEv18rocblas_operation_S7_T0_S8_S8_T1_T2_lS8_S8_lT3_lS8_S8_lS9_T4_lS8_S8_l
                                        ; -- End function
	.set _ZN9rocsolver6v33100L16mfma_gemm_kernelI19rocblas_complex_numIdElPKS3_PS3_S6_S6_EEv18rocblas_operation_S7_T0_S8_S8_T1_T2_lS8_S8_lT3_lS8_S8_lS9_T4_lS8_S8_l.num_vgpr, 0
	.set _ZN9rocsolver6v33100L16mfma_gemm_kernelI19rocblas_complex_numIdElPKS3_PS3_S6_S6_EEv18rocblas_operation_S7_T0_S8_S8_T1_T2_lS8_S8_lT3_lS8_S8_lS9_T4_lS8_S8_l.num_agpr, 0
	.set _ZN9rocsolver6v33100L16mfma_gemm_kernelI19rocblas_complex_numIdElPKS3_PS3_S6_S6_EEv18rocblas_operation_S7_T0_S8_S8_T1_T2_lS8_S8_lT3_lS8_S8_lS9_T4_lS8_S8_l.numbered_sgpr, 0
	.set _ZN9rocsolver6v33100L16mfma_gemm_kernelI19rocblas_complex_numIdElPKS3_PS3_S6_S6_EEv18rocblas_operation_S7_T0_S8_S8_T1_T2_lS8_S8_lT3_lS8_S8_lS9_T4_lS8_S8_l.num_named_barrier, 0
	.set _ZN9rocsolver6v33100L16mfma_gemm_kernelI19rocblas_complex_numIdElPKS3_PS3_S6_S6_EEv18rocblas_operation_S7_T0_S8_S8_T1_T2_lS8_S8_lT3_lS8_S8_lS9_T4_lS8_S8_l.private_seg_size, 0
	.set _ZN9rocsolver6v33100L16mfma_gemm_kernelI19rocblas_complex_numIdElPKS3_PS3_S6_S6_EEv18rocblas_operation_S7_T0_S8_S8_T1_T2_lS8_S8_lT3_lS8_S8_lS9_T4_lS8_S8_l.uses_vcc, 0
	.set _ZN9rocsolver6v33100L16mfma_gemm_kernelI19rocblas_complex_numIdElPKS3_PS3_S6_S6_EEv18rocblas_operation_S7_T0_S8_S8_T1_T2_lS8_S8_lT3_lS8_S8_lS9_T4_lS8_S8_l.uses_flat_scratch, 0
	.set _ZN9rocsolver6v33100L16mfma_gemm_kernelI19rocblas_complex_numIdElPKS3_PS3_S6_S6_EEv18rocblas_operation_S7_T0_S8_S8_T1_T2_lS8_S8_lT3_lS8_S8_lS9_T4_lS8_S8_l.has_dyn_sized_stack, 0
	.set _ZN9rocsolver6v33100L16mfma_gemm_kernelI19rocblas_complex_numIdElPKS3_PS3_S6_S6_EEv18rocblas_operation_S7_T0_S8_S8_T1_T2_lS8_S8_lT3_lS8_S8_lS9_T4_lS8_S8_l.has_recursion, 0
	.set _ZN9rocsolver6v33100L16mfma_gemm_kernelI19rocblas_complex_numIdElPKS3_PS3_S6_S6_EEv18rocblas_operation_S7_T0_S8_S8_T1_T2_lS8_S8_lT3_lS8_S8_lS9_T4_lS8_S8_l.has_indirect_call, 0
	.section	.AMDGPU.csdata,"",@progbits
; Kernel info:
; codeLenInByte = 4
; TotalNumSgprs: 0
; NumVgprs: 0
; ScratchSize: 0
; MemoryBound: 0
; FloatMode: 240
; IeeeMode: 1
; LDSByteSize: 0 bytes/workgroup (compile time only)
; SGPRBlocks: 0
; VGPRBlocks: 0
; NumSGPRsForWavesPerEU: 1
; NumVGPRsForWavesPerEU: 1
; NamedBarCnt: 0
; Occupancy: 16
; WaveLimiterHint : 0
; COMPUTE_PGM_RSRC2:SCRATCH_EN: 0
; COMPUTE_PGM_RSRC2:USER_SGPR: 2
; COMPUTE_PGM_RSRC2:TRAP_HANDLER: 0
; COMPUTE_PGM_RSRC2:TGID_X_EN: 1
; COMPUTE_PGM_RSRC2:TGID_Y_EN: 0
; COMPUTE_PGM_RSRC2:TGID_Z_EN: 0
; COMPUTE_PGM_RSRC2:TIDIG_COMP_CNT: 0
	.section	.text._ZN9rocsolver6v33100L16mfma_gemm_kernelI19rocblas_complex_numIdElS3_PS3_S4_S4_EEv18rocblas_operation_S5_T0_S6_S6_T1_T2_lS6_S6_lT3_lS6_S6_lS7_T4_lS6_S6_l,"axG",@progbits,_ZN9rocsolver6v33100L16mfma_gemm_kernelI19rocblas_complex_numIdElS3_PS3_S4_S4_EEv18rocblas_operation_S5_T0_S6_S6_T1_T2_lS6_S6_lT3_lS6_S6_lS7_T4_lS6_S6_l,comdat
	.globl	_ZN9rocsolver6v33100L16mfma_gemm_kernelI19rocblas_complex_numIdElS3_PS3_S4_S4_EEv18rocblas_operation_S5_T0_S6_S6_T1_T2_lS6_S6_lT3_lS6_S6_lS7_T4_lS6_S6_l ; -- Begin function _ZN9rocsolver6v33100L16mfma_gemm_kernelI19rocblas_complex_numIdElS3_PS3_S4_S4_EEv18rocblas_operation_S5_T0_S6_S6_T1_T2_lS6_S6_lT3_lS6_S6_lS7_T4_lS6_S6_l
	.p2align	8
	.type	_ZN9rocsolver6v33100L16mfma_gemm_kernelI19rocblas_complex_numIdElS3_PS3_S4_S4_EEv18rocblas_operation_S5_T0_S6_S6_T1_T2_lS6_S6_lT3_lS6_S6_lS7_T4_lS6_S6_l,@function
_ZN9rocsolver6v33100L16mfma_gemm_kernelI19rocblas_complex_numIdElS3_PS3_S4_S4_EEv18rocblas_operation_S5_T0_S6_S6_T1_T2_lS6_S6_lT3_lS6_S6_lS7_T4_lS6_S6_l: ; @_ZN9rocsolver6v33100L16mfma_gemm_kernelI19rocblas_complex_numIdElS3_PS3_S4_S4_EEv18rocblas_operation_S5_T0_S6_S6_T1_T2_lS6_S6_lT3_lS6_S6_lS7_T4_lS6_S6_l
; %bb.0:
	s_endpgm
	.section	.rodata,"a",@progbits
	.p2align	6, 0x0
	.amdhsa_kernel _ZN9rocsolver6v33100L16mfma_gemm_kernelI19rocblas_complex_numIdElS3_PS3_S4_S4_EEv18rocblas_operation_S5_T0_S6_S6_T1_T2_lS6_S6_lT3_lS6_S6_lS7_T4_lS6_S6_l
		.amdhsa_group_segment_fixed_size 0
		.amdhsa_private_segment_fixed_size 0
		.amdhsa_kernarg_size 184
		.amdhsa_user_sgpr_count 2
		.amdhsa_user_sgpr_dispatch_ptr 0
		.amdhsa_user_sgpr_queue_ptr 0
		.amdhsa_user_sgpr_kernarg_segment_ptr 1
		.amdhsa_user_sgpr_dispatch_id 0
		.amdhsa_user_sgpr_kernarg_preload_length 0
		.amdhsa_user_sgpr_kernarg_preload_offset 0
		.amdhsa_user_sgpr_private_segment_size 0
		.amdhsa_wavefront_size32 1
		.amdhsa_uses_dynamic_stack 0
		.amdhsa_enable_private_segment 0
		.amdhsa_system_sgpr_workgroup_id_x 1
		.amdhsa_system_sgpr_workgroup_id_y 0
		.amdhsa_system_sgpr_workgroup_id_z 0
		.amdhsa_system_sgpr_workgroup_info 0
		.amdhsa_system_vgpr_workitem_id 0
		.amdhsa_next_free_vgpr 1
		.amdhsa_next_free_sgpr 1
		.amdhsa_named_barrier_count 0
		.amdhsa_reserve_vcc 0
		.amdhsa_float_round_mode_32 0
		.amdhsa_float_round_mode_16_64 0
		.amdhsa_float_denorm_mode_32 3
		.amdhsa_float_denorm_mode_16_64 3
		.amdhsa_fp16_overflow 0
		.amdhsa_memory_ordered 1
		.amdhsa_forward_progress 1
		.amdhsa_inst_pref_size 1
		.amdhsa_round_robin_scheduling 0
		.amdhsa_exception_fp_ieee_invalid_op 0
		.amdhsa_exception_fp_denorm_src 0
		.amdhsa_exception_fp_ieee_div_zero 0
		.amdhsa_exception_fp_ieee_overflow 0
		.amdhsa_exception_fp_ieee_underflow 0
		.amdhsa_exception_fp_ieee_inexact 0
		.amdhsa_exception_int_div_zero 0
	.end_amdhsa_kernel
	.section	.text._ZN9rocsolver6v33100L16mfma_gemm_kernelI19rocblas_complex_numIdElS3_PS3_S4_S4_EEv18rocblas_operation_S5_T0_S6_S6_T1_T2_lS6_S6_lT3_lS6_S6_lS7_T4_lS6_S6_l,"axG",@progbits,_ZN9rocsolver6v33100L16mfma_gemm_kernelI19rocblas_complex_numIdElS3_PS3_S4_S4_EEv18rocblas_operation_S5_T0_S6_S6_T1_T2_lS6_S6_lT3_lS6_S6_lS7_T4_lS6_S6_l,comdat
.Lfunc_end34:
	.size	_ZN9rocsolver6v33100L16mfma_gemm_kernelI19rocblas_complex_numIdElS3_PS3_S4_S4_EEv18rocblas_operation_S5_T0_S6_S6_T1_T2_lS6_S6_lT3_lS6_S6_lS7_T4_lS6_S6_l, .Lfunc_end34-_ZN9rocsolver6v33100L16mfma_gemm_kernelI19rocblas_complex_numIdElS3_PS3_S4_S4_EEv18rocblas_operation_S5_T0_S6_S6_T1_T2_lS6_S6_lT3_lS6_S6_lS7_T4_lS6_S6_l
                                        ; -- End function
	.set _ZN9rocsolver6v33100L16mfma_gemm_kernelI19rocblas_complex_numIdElS3_PS3_S4_S4_EEv18rocblas_operation_S5_T0_S6_S6_T1_T2_lS6_S6_lT3_lS6_S6_lS7_T4_lS6_S6_l.num_vgpr, 0
	.set _ZN9rocsolver6v33100L16mfma_gemm_kernelI19rocblas_complex_numIdElS3_PS3_S4_S4_EEv18rocblas_operation_S5_T0_S6_S6_T1_T2_lS6_S6_lT3_lS6_S6_lS7_T4_lS6_S6_l.num_agpr, 0
	.set _ZN9rocsolver6v33100L16mfma_gemm_kernelI19rocblas_complex_numIdElS3_PS3_S4_S4_EEv18rocblas_operation_S5_T0_S6_S6_T1_T2_lS6_S6_lT3_lS6_S6_lS7_T4_lS6_S6_l.numbered_sgpr, 0
	.set _ZN9rocsolver6v33100L16mfma_gemm_kernelI19rocblas_complex_numIdElS3_PS3_S4_S4_EEv18rocblas_operation_S5_T0_S6_S6_T1_T2_lS6_S6_lT3_lS6_S6_lS7_T4_lS6_S6_l.num_named_barrier, 0
	.set _ZN9rocsolver6v33100L16mfma_gemm_kernelI19rocblas_complex_numIdElS3_PS3_S4_S4_EEv18rocblas_operation_S5_T0_S6_S6_T1_T2_lS6_S6_lT3_lS6_S6_lS7_T4_lS6_S6_l.private_seg_size, 0
	.set _ZN9rocsolver6v33100L16mfma_gemm_kernelI19rocblas_complex_numIdElS3_PS3_S4_S4_EEv18rocblas_operation_S5_T0_S6_S6_T1_T2_lS6_S6_lT3_lS6_S6_lS7_T4_lS6_S6_l.uses_vcc, 0
	.set _ZN9rocsolver6v33100L16mfma_gemm_kernelI19rocblas_complex_numIdElS3_PS3_S4_S4_EEv18rocblas_operation_S5_T0_S6_S6_T1_T2_lS6_S6_lT3_lS6_S6_lS7_T4_lS6_S6_l.uses_flat_scratch, 0
	.set _ZN9rocsolver6v33100L16mfma_gemm_kernelI19rocblas_complex_numIdElS3_PS3_S4_S4_EEv18rocblas_operation_S5_T0_S6_S6_T1_T2_lS6_S6_lT3_lS6_S6_lS7_T4_lS6_S6_l.has_dyn_sized_stack, 0
	.set _ZN9rocsolver6v33100L16mfma_gemm_kernelI19rocblas_complex_numIdElS3_PS3_S4_S4_EEv18rocblas_operation_S5_T0_S6_S6_T1_T2_lS6_S6_lT3_lS6_S6_lS7_T4_lS6_S6_l.has_recursion, 0
	.set _ZN9rocsolver6v33100L16mfma_gemm_kernelI19rocblas_complex_numIdElS3_PS3_S4_S4_EEv18rocblas_operation_S5_T0_S6_S6_T1_T2_lS6_S6_lT3_lS6_S6_lS7_T4_lS6_S6_l.has_indirect_call, 0
	.section	.AMDGPU.csdata,"",@progbits
; Kernel info:
; codeLenInByte = 4
; TotalNumSgprs: 0
; NumVgprs: 0
; ScratchSize: 0
; MemoryBound: 0
; FloatMode: 240
; IeeeMode: 1
; LDSByteSize: 0 bytes/workgroup (compile time only)
; SGPRBlocks: 0
; VGPRBlocks: 0
; NumSGPRsForWavesPerEU: 1
; NumVGPRsForWavesPerEU: 1
; NamedBarCnt: 0
; Occupancy: 16
; WaveLimiterHint : 0
; COMPUTE_PGM_RSRC2:SCRATCH_EN: 0
; COMPUTE_PGM_RSRC2:USER_SGPR: 2
; COMPUTE_PGM_RSRC2:TRAP_HANDLER: 0
; COMPUTE_PGM_RSRC2:TGID_X_EN: 1
; COMPUTE_PGM_RSRC2:TGID_Y_EN: 0
; COMPUTE_PGM_RSRC2:TGID_Z_EN: 0
; COMPUTE_PGM_RSRC2:TIDIG_COMP_CNT: 0
	.section	.text._ZN9rocsolver6v33100L11gemm_kernelI19rocblas_complex_numIdElPKS3_PS3_S6_S6_EEvT0_S7_S7_T1_bT2_lS7_S7_lbT3_lS7_S7_lS8_T4_lS7_S7_l,"axG",@progbits,_ZN9rocsolver6v33100L11gemm_kernelI19rocblas_complex_numIdElPKS3_PS3_S6_S6_EEvT0_S7_S7_T1_bT2_lS7_S7_lbT3_lS7_S7_lS8_T4_lS7_S7_l,comdat
	.globl	_ZN9rocsolver6v33100L11gemm_kernelI19rocblas_complex_numIdElPKS3_PS3_S6_S6_EEvT0_S7_S7_T1_bT2_lS7_S7_lbT3_lS7_S7_lS8_T4_lS7_S7_l ; -- Begin function _ZN9rocsolver6v33100L11gemm_kernelI19rocblas_complex_numIdElPKS3_PS3_S6_S6_EEvT0_S7_S7_T1_bT2_lS7_S7_lbT3_lS7_S7_lS8_T4_lS7_S7_l
	.p2align	8
	.type	_ZN9rocsolver6v33100L11gemm_kernelI19rocblas_complex_numIdElPKS3_PS3_S6_S6_EEvT0_S7_S7_T1_bT2_lS7_S7_lbT3_lS7_S7_lS8_T4_lS7_S7_l,@function
_ZN9rocsolver6v33100L11gemm_kernelI19rocblas_complex_numIdElPKS3_PS3_S6_S6_EEvT0_S7_S7_T1_bT2_lS7_S7_lbT3_lS7_S7_lS8_T4_lS7_S7_l: ; @_ZN9rocsolver6v33100L11gemm_kernelI19rocblas_complex_numIdElPKS3_PS3_S6_S6_EEvT0_S7_S7_T1_bT2_lS7_S7_lbT3_lS7_S7_lS8_T4_lS7_S7_l
; %bb.0:
	s_load_b32 s2, s[0:1], 0xbc
	s_bfe_u32 s5, ttmp6, 0x40010
	s_bfe_u32 s8, ttmp6, 0x4000c
	s_and_b32 s4, ttmp7, 0xffff
	s_add_co_i32 s5, s5, 1
	s_add_co_i32 s8, s8, 1
	s_bfe_u32 s6, ttmp6, 0x40004
	s_and_b32 s7, ttmp6, 15
	s_mul_i32 s5, s4, s5
	s_mul_i32 s8, ttmp9, s8
	s_getreg_b32 s3, hwreg(HW_REG_IB_STS2, 6, 4)
	v_mov_b32_e32 v5, 0
	v_and_b32_e32 v4, 0x3ff, v0
	s_add_co_i32 s6, s6, s5
	s_add_co_i32 s7, s7, s8
	s_load_b256 s[16:23], s[0:1], 0x0
	s_mov_b32 s35, 0
	s_wait_kmcnt 0x0
	s_lshr_b32 s5, s2, 16
	s_and_b32 s2, s2, 0xffff
	s_cmp_eq_u32 s3, 0
	s_cselect_b32 s7, ttmp9, s7
	s_delay_alu instid0(SALU_CYCLE_1)
	v_mad_nc_u64_u32 v[2:3], s2, s7, v[4:5]
	v_bfe_u32 v4, v0, 10, 10
	s_cselect_b32 s2, s4, s6
	s_delay_alu instid0(VALU_DEP_1) | instid1(SALU_CYCLE_1)
	v_mad_nc_u64_u32 v[0:1], s5, s2, v[4:5]
	s_delay_alu instid0(VALU_DEP_3) | instskip(NEXT) | instid1(VALU_DEP_2)
	v_cmp_gt_i64_e32 vcc_lo, s[16:17], v[2:3]
	v_cmp_gt_i64_e64 s2, s[18:19], v[0:1]
	s_and_b32 s2, vcc_lo, s2
	s_delay_alu instid0(SALU_CYCLE_1)
	s_and_saveexec_b32 s4, s2
	s_cbranch_execz .LBB35_6
; %bb.1:
	s_load_b512 s[4:19], s[0:1], 0x58
	s_bfe_u32 s2, ttmp6, 0x40014
	s_lshr_b32 s24, ttmp7, 16
	s_add_co_i32 s2, s2, 1
	v_cmp_lt_i64_e64 s25, s[20:21], 1
	s_mul_i32 s2, s24, s2
	s_bfe_u32 s26, ttmp6, 0x40008
	s_delay_alu instid0(SALU_CYCLE_1)
	s_add_co_i32 s26, s26, s2
	s_cmp_eq_u32 s3, 0
	s_cselect_b32 s34, s24, s26
	s_and_b32 vcc_lo, exec_lo, s25
	s_cbranch_vccnz .LBB35_4
; %bb.2:
	s_clause 0x1
	s_load_b256 s[24:31], s[0:1], 0x28
	s_load_b32 s2, s[0:1], 0x20
	s_wait_kmcnt 0x0
	v_mul_u64_e32 v[4:5], s[10:11], v[0:1]
	s_load_b96 s[36:38], s[0:1], 0x48
	s_mul_u64 s[10:11], s[12:13], s[34:35]
	v_mul_u64_e32 v[6:7], s[28:29], v[2:3]
	s_bitcmp1_b32 s2, 0
	s_wait_kmcnt 0x0
	s_mul_u64 s[12:13], s[36:37], s[34:35]
	s_cselect_b32 vcc_lo, -1, 0
	s_bitcmp1_b32 s38, 0
	s_cselect_b32 s2, -1, 0
	s_lshl_b64 s[26:27], s[26:27], 4
	s_lshl_b64 s[6:7], s[6:7], 4
	;; [unrolled: 1-line block ×4, first 2 shown]
	s_add_nc_u64 s[4:5], s[4:5], s[6:7]
	s_add_nc_u64 s[6:7], s[24:25], s[26:27]
	s_add_nc_u64 s[4:5], s[4:5], s[10:11]
	s_add_nc_u64 s[6:7], s[6:7], s[12:13]
	s_delay_alu instid0(VALU_DEP_2) | instskip(SKIP_2) | instid1(VALU_DEP_2)
	v_lshl_add_u64 v[8:9], v[4:5], 4, s[4:5]
	v_mov_b64_e32 v[4:5], 0
	s_lshl_b64 s[4:5], s[30:31], 4
	v_add_nc_u64_e32 v[8:9], 8, v[8:9]
	s_delay_alu instid0(VALU_DEP_4) | instskip(SKIP_1) | instid1(VALU_DEP_1)
	v_lshl_add_u64 v[6:7], v[6:7], 4, s[6:7]
	s_lshl_b64 s[6:7], s[8:9], 4
	v_add_nc_u64_e32 v[10:11], 8, v[6:7]
	v_mov_b64_e32 v[6:7], 0
.LBB35_3:                               ; =>This Inner Loop Header: Depth=1
	global_load_b128 v[12:15], v[10:11], off offset:-8
	global_load_b128 v[16:19], v[8:9], off offset:-8
	s_wait_xcnt 0x1
	v_add_nc_u64_e32 v[10:11], s[4:5], v[10:11]
	s_wait_xcnt 0x0
	v_add_nc_u64_e32 v[8:9], s[6:7], v[8:9]
	s_add_nc_u64 s[20:21], s[20:21], -1
	s_delay_alu instid0(SALU_CYCLE_1) | instskip(SKIP_4) | instid1(VALU_DEP_2)
	s_cmp_eq_u64 s[20:21], 0
	s_wait_loadcnt 0x1
	v_xor_b32_e32 v20, 0x80000000, v15
	s_wait_loadcnt 0x0
	v_xor_b32_e32 v21, 0x80000000, v19
	v_cndmask_b32_e32 v15, v15, v20, vcc_lo
	s_delay_alu instid0(VALU_DEP_2) | instskip(NEXT) | instid1(VALU_DEP_1)
	v_cndmask_b32_e64 v19, v19, v21, s2
	v_mul_f64_e32 v[20:21], v[14:15], v[18:19]
	v_mul_f64_e32 v[14:15], v[14:15], v[16:17]
	s_delay_alu instid0(VALU_DEP_2) | instskip(NEXT) | instid1(VALU_DEP_2)
	v_fma_f64 v[16:17], v[12:13], v[16:17], -v[20:21]
	v_fmac_f64_e32 v[14:15], v[12:13], v[18:19]
	s_delay_alu instid0(VALU_DEP_2) | instskip(NEXT) | instid1(VALU_DEP_2)
	v_add_f64_e32 v[6:7], v[6:7], v[16:17]
	v_add_f64_e32 v[4:5], v[4:5], v[14:15]
	s_cbranch_scc0 .LBB35_3
	s_branch .LBB35_5
.LBB35_4:
	v_mov_b64_e32 v[4:5], 0
	v_mov_b64_e32 v[6:7], 0
.LBB35_5:
	s_wait_kmcnt 0x0
	s_load_b128 s[8:11], s[22:23], 0x0
	s_load_b128 s[4:7], s[14:15], 0x0
                                        ; kill: killed $sgpr14_sgpr15
                                        ; kill: killed $sgpr22_sgpr23
	s_wait_xcnt 0x0
	s_clause 0x1
	s_load_b128 s[12:15], s[0:1], 0x98
	s_load_b64 s[2:3], s[0:1], 0xa8
	s_wait_kmcnt 0x0
	s_delay_alu instid0(VALU_DEP_1)
	v_mul_f64_e32 v[10:11], s[10:11], v[4:5]
	v_mul_f64_e32 v[4:5], s[8:9], v[4:5]
	v_mul_u64_e32 v[2:3], s[12:13], v[2:3]
	v_mul_u64_e32 v[0:1], s[14:15], v[0:1]
	s_mul_u64 s[0:1], s[2:3], s[34:35]
	s_lshl_b64 s[2:3], s[18:19], 4
	s_lshl_b64 s[0:1], s[0:1], 4
	s_delay_alu instid0(SALU_CYCLE_1) | instskip(NEXT) | instid1(SALU_CYCLE_1)
	s_add_nc_u64 s[0:1], s[16:17], s[0:1]
	s_add_nc_u64 s[0:1], s[0:1], s[2:3]
	s_delay_alu instid0(VALU_DEP_4) | instskip(NEXT) | instid1(VALU_DEP_4)
	v_fma_f64 v[10:11], s[8:9], v[6:7], -v[10:11]
	v_fmac_f64_e32 v[4:5], s[10:11], v[6:7]
	s_delay_alu instid0(VALU_DEP_4) | instskip(NEXT) | instid1(VALU_DEP_1)
	v_lshl_add_u64 v[2:3], v[2:3], 4, s[0:1]
	v_lshl_add_u64 v[8:9], v[0:1], 4, v[2:3]
	global_load_b128 v[0:3], v[8:9], off
	s_wait_loadcnt 0x0
	v_mul_f64_e32 v[12:13], s[6:7], v[2:3]
	v_mul_f64_e32 v[2:3], s[4:5], v[2:3]
	s_delay_alu instid0(VALU_DEP_2) | instskip(NEXT) | instid1(VALU_DEP_2)
	v_fma_f64 v[6:7], s[4:5], v[0:1], -v[12:13]
	v_fmac_f64_e32 v[2:3], s[6:7], v[0:1]
	s_delay_alu instid0(VALU_DEP_2) | instskip(NEXT) | instid1(VALU_DEP_2)
	v_add_f64_e32 v[0:1], v[10:11], v[6:7]
	v_add_f64_e32 v[2:3], v[4:5], v[2:3]
	global_store_b128 v[8:9], v[0:3], off
.LBB35_6:
	s_endpgm
	.section	.rodata,"a",@progbits
	.p2align	6, 0x0
	.amdhsa_kernel _ZN9rocsolver6v33100L11gemm_kernelI19rocblas_complex_numIdElPKS3_PS3_S6_S6_EEvT0_S7_S7_T1_bT2_lS7_S7_lbT3_lS7_S7_lS8_T4_lS7_S7_l
		.amdhsa_group_segment_fixed_size 0
		.amdhsa_private_segment_fixed_size 0
		.amdhsa_kernarg_size 432
		.amdhsa_user_sgpr_count 2
		.amdhsa_user_sgpr_dispatch_ptr 0
		.amdhsa_user_sgpr_queue_ptr 0
		.amdhsa_user_sgpr_kernarg_segment_ptr 1
		.amdhsa_user_sgpr_dispatch_id 0
		.amdhsa_user_sgpr_kernarg_preload_length 0
		.amdhsa_user_sgpr_kernarg_preload_offset 0
		.amdhsa_user_sgpr_private_segment_size 0
		.amdhsa_wavefront_size32 1
		.amdhsa_uses_dynamic_stack 0
		.amdhsa_enable_private_segment 0
		.amdhsa_system_sgpr_workgroup_id_x 1
		.amdhsa_system_sgpr_workgroup_id_y 1
		.amdhsa_system_sgpr_workgroup_id_z 1
		.amdhsa_system_sgpr_workgroup_info 0
		.amdhsa_system_vgpr_workitem_id 1
		.amdhsa_next_free_vgpr 22
		.amdhsa_next_free_sgpr 39
		.amdhsa_named_barrier_count 0
		.amdhsa_reserve_vcc 1
		.amdhsa_float_round_mode_32 0
		.amdhsa_float_round_mode_16_64 0
		.amdhsa_float_denorm_mode_32 3
		.amdhsa_float_denorm_mode_16_64 3
		.amdhsa_fp16_overflow 0
		.amdhsa_memory_ordered 1
		.amdhsa_forward_progress 1
		.amdhsa_inst_pref_size 6
		.amdhsa_round_robin_scheduling 0
		.amdhsa_exception_fp_ieee_invalid_op 0
		.amdhsa_exception_fp_denorm_src 0
		.amdhsa_exception_fp_ieee_div_zero 0
		.amdhsa_exception_fp_ieee_overflow 0
		.amdhsa_exception_fp_ieee_underflow 0
		.amdhsa_exception_fp_ieee_inexact 0
		.amdhsa_exception_int_div_zero 0
	.end_amdhsa_kernel
	.section	.text._ZN9rocsolver6v33100L11gemm_kernelI19rocblas_complex_numIdElPKS3_PS3_S6_S6_EEvT0_S7_S7_T1_bT2_lS7_S7_lbT3_lS7_S7_lS8_T4_lS7_S7_l,"axG",@progbits,_ZN9rocsolver6v33100L11gemm_kernelI19rocblas_complex_numIdElPKS3_PS3_S6_S6_EEvT0_S7_S7_T1_bT2_lS7_S7_lbT3_lS7_S7_lS8_T4_lS7_S7_l,comdat
.Lfunc_end35:
	.size	_ZN9rocsolver6v33100L11gemm_kernelI19rocblas_complex_numIdElPKS3_PS3_S6_S6_EEvT0_S7_S7_T1_bT2_lS7_S7_lbT3_lS7_S7_lS8_T4_lS7_S7_l, .Lfunc_end35-_ZN9rocsolver6v33100L11gemm_kernelI19rocblas_complex_numIdElPKS3_PS3_S6_S6_EEvT0_S7_S7_T1_bT2_lS7_S7_lbT3_lS7_S7_lS8_T4_lS7_S7_l
                                        ; -- End function
	.set _ZN9rocsolver6v33100L11gemm_kernelI19rocblas_complex_numIdElPKS3_PS3_S6_S6_EEvT0_S7_S7_T1_bT2_lS7_S7_lbT3_lS7_S7_lS8_T4_lS7_S7_l.num_vgpr, 22
	.set _ZN9rocsolver6v33100L11gemm_kernelI19rocblas_complex_numIdElPKS3_PS3_S6_S6_EEvT0_S7_S7_T1_bT2_lS7_S7_lbT3_lS7_S7_lS8_T4_lS7_S7_l.num_agpr, 0
	.set _ZN9rocsolver6v33100L11gemm_kernelI19rocblas_complex_numIdElPKS3_PS3_S6_S6_EEvT0_S7_S7_T1_bT2_lS7_S7_lbT3_lS7_S7_lS8_T4_lS7_S7_l.numbered_sgpr, 39
	.set _ZN9rocsolver6v33100L11gemm_kernelI19rocblas_complex_numIdElPKS3_PS3_S6_S6_EEvT0_S7_S7_T1_bT2_lS7_S7_lbT3_lS7_S7_lS8_T4_lS7_S7_l.num_named_barrier, 0
	.set _ZN9rocsolver6v33100L11gemm_kernelI19rocblas_complex_numIdElPKS3_PS3_S6_S6_EEvT0_S7_S7_T1_bT2_lS7_S7_lbT3_lS7_S7_lS8_T4_lS7_S7_l.private_seg_size, 0
	.set _ZN9rocsolver6v33100L11gemm_kernelI19rocblas_complex_numIdElPKS3_PS3_S6_S6_EEvT0_S7_S7_T1_bT2_lS7_S7_lbT3_lS7_S7_lS8_T4_lS7_S7_l.uses_vcc, 1
	.set _ZN9rocsolver6v33100L11gemm_kernelI19rocblas_complex_numIdElPKS3_PS3_S6_S6_EEvT0_S7_S7_T1_bT2_lS7_S7_lbT3_lS7_S7_lS8_T4_lS7_S7_l.uses_flat_scratch, 0
	.set _ZN9rocsolver6v33100L11gemm_kernelI19rocblas_complex_numIdElPKS3_PS3_S6_S6_EEvT0_S7_S7_T1_bT2_lS7_S7_lbT3_lS7_S7_lS8_T4_lS7_S7_l.has_dyn_sized_stack, 0
	.set _ZN9rocsolver6v33100L11gemm_kernelI19rocblas_complex_numIdElPKS3_PS3_S6_S6_EEvT0_S7_S7_T1_bT2_lS7_S7_lbT3_lS7_S7_lS8_T4_lS7_S7_l.has_recursion, 0
	.set _ZN9rocsolver6v33100L11gemm_kernelI19rocblas_complex_numIdElPKS3_PS3_S6_S6_EEvT0_S7_S7_T1_bT2_lS7_S7_lbT3_lS7_S7_lS8_T4_lS7_S7_l.has_indirect_call, 0
	.section	.AMDGPU.csdata,"",@progbits
; Kernel info:
; codeLenInByte = 744
; TotalNumSgprs: 41
; NumVgprs: 22
; ScratchSize: 0
; MemoryBound: 0
; FloatMode: 240
; IeeeMode: 1
; LDSByteSize: 0 bytes/workgroup (compile time only)
; SGPRBlocks: 0
; VGPRBlocks: 1
; NumSGPRsForWavesPerEU: 41
; NumVGPRsForWavesPerEU: 22
; NamedBarCnt: 0
; Occupancy: 16
; WaveLimiterHint : 0
; COMPUTE_PGM_RSRC2:SCRATCH_EN: 0
; COMPUTE_PGM_RSRC2:USER_SGPR: 2
; COMPUTE_PGM_RSRC2:TRAP_HANDLER: 0
; COMPUTE_PGM_RSRC2:TGID_X_EN: 1
; COMPUTE_PGM_RSRC2:TGID_Y_EN: 1
; COMPUTE_PGM_RSRC2:TGID_Z_EN: 1
; COMPUTE_PGM_RSRC2:TIDIG_COMP_CNT: 1
	.section	.text._ZN9rocsolver6v33100L11gemm_kernelI19rocblas_complex_numIdElS3_PS3_S4_S4_EEvT0_S5_S5_T1_bT2_lS5_S5_lbT3_lS5_S5_lS6_T4_lS5_S5_l,"axG",@progbits,_ZN9rocsolver6v33100L11gemm_kernelI19rocblas_complex_numIdElS3_PS3_S4_S4_EEvT0_S5_S5_T1_bT2_lS5_S5_lbT3_lS5_S5_lS6_T4_lS5_S5_l,comdat
	.globl	_ZN9rocsolver6v33100L11gemm_kernelI19rocblas_complex_numIdElS3_PS3_S4_S4_EEvT0_S5_S5_T1_bT2_lS5_S5_lbT3_lS5_S5_lS6_T4_lS5_S5_l ; -- Begin function _ZN9rocsolver6v33100L11gemm_kernelI19rocblas_complex_numIdElS3_PS3_S4_S4_EEvT0_S5_S5_T1_bT2_lS5_S5_lbT3_lS5_S5_lS6_T4_lS5_S5_l
	.p2align	8
	.type	_ZN9rocsolver6v33100L11gemm_kernelI19rocblas_complex_numIdElS3_PS3_S4_S4_EEvT0_S5_S5_T1_bT2_lS5_S5_lbT3_lS5_S5_lS6_T4_lS5_S5_l,@function
_ZN9rocsolver6v33100L11gemm_kernelI19rocblas_complex_numIdElS3_PS3_S4_S4_EEvT0_S5_S5_T1_bT2_lS5_S5_lbT3_lS5_S5_lS6_T4_lS5_S5_l: ; @_ZN9rocsolver6v33100L11gemm_kernelI19rocblas_complex_numIdElS3_PS3_S4_S4_EEvT0_S5_S5_T1_bT2_lS5_S5_lbT3_lS5_S5_lS6_T4_lS5_S5_l
; %bb.0:
	s_load_b32 s2, s[0:1], 0xcc
	s_bfe_u32 s5, ttmp6, 0x40010
	s_bfe_u32 s8, ttmp6, 0x4000c
	s_and_b32 s4, ttmp7, 0xffff
	s_add_co_i32 s5, s5, 1
	s_add_co_i32 s8, s8, 1
	s_bfe_u32 s6, ttmp6, 0x40004
	s_and_b32 s7, ttmp6, 15
	s_mul_i32 s5, s4, s5
	s_mul_i32 s8, ttmp9, s8
	s_getreg_b32 s3, hwreg(HW_REG_IB_STS2, 6, 4)
	v_mov_b32_e32 v5, 0
	v_and_b32_e32 v4, 0x3ff, v0
	s_add_co_i32 s6, s6, s5
	s_add_co_i32 s7, s7, s8
	s_load_b256 s[16:23], s[0:1], 0x0
	s_mov_b32 s37, 0
	s_wait_kmcnt 0x0
	s_lshr_b32 s5, s2, 16
	s_and_b32 s2, s2, 0xffff
	s_cmp_eq_u32 s3, 0
	s_cselect_b32 s7, ttmp9, s7
	s_delay_alu instid0(SALU_CYCLE_1)
	v_mad_nc_u64_u32 v[2:3], s2, s7, v[4:5]
	v_bfe_u32 v4, v0, 10, 10
	s_cselect_b32 s2, s4, s6
	s_delay_alu instid0(VALU_DEP_1) | instid1(SALU_CYCLE_1)
	v_mad_nc_u64_u32 v[0:1], s5, s2, v[4:5]
	s_delay_alu instid0(VALU_DEP_3) | instskip(NEXT) | instid1(VALU_DEP_2)
	v_cmp_gt_i64_e32 vcc_lo, s[16:17], v[2:3]
	v_cmp_gt_i64_e64 s2, s[18:19], v[0:1]
	s_and_b32 s2, vcc_lo, s2
	s_delay_alu instid0(SALU_CYCLE_1)
	s_and_saveexec_b32 s4, s2
	s_cbranch_execz .LBB36_6
; %bb.1:
	s_clause 0x1
	s_load_b64 s[34:35], s[0:1], 0x20
	s_load_b512 s[4:19], s[0:1], 0x60
	s_bfe_u32 s2, ttmp6, 0x40014
	s_lshr_b32 s24, ttmp7, 16
	s_add_co_i32 s2, s2, 1
	v_cmp_lt_i64_e64 s25, s[20:21], 1
	s_mul_i32 s2, s24, s2
	s_bfe_u32 s26, ttmp6, 0x40008
	s_delay_alu instid0(SALU_CYCLE_1)
	s_add_co_i32 s26, s26, s2
	s_cmp_eq_u32 s3, 0
	s_cselect_b32 s36, s24, s26
	s_and_b32 vcc_lo, exec_lo, s25
	s_cbranch_vccnz .LBB36_4
; %bb.2:
	s_clause 0x1
	s_load_b256 s[24:31], s[0:1], 0x30
	s_load_b32 s2, s[0:1], 0x28
	s_wait_kmcnt 0x0
	v_mul_u64_e32 v[4:5], s[10:11], v[0:1]
	s_load_b96 s[40:42], s[0:1], 0x50
	s_mul_u64 s[10:11], s[12:13], s[36:37]
	v_mul_u64_e32 v[6:7], s[28:29], v[2:3]
	s_bitcmp1_b32 s2, 0
	s_wait_kmcnt 0x0
	s_mul_u64 s[12:13], s[40:41], s[36:37]
	s_cselect_b32 vcc_lo, -1, 0
	s_bitcmp1_b32 s42, 0
	s_cselect_b32 s2, -1, 0
	s_lshl_b64 s[26:27], s[26:27], 4
	s_lshl_b64 s[6:7], s[6:7], 4
	;; [unrolled: 1-line block ×4, first 2 shown]
	s_add_nc_u64 s[4:5], s[4:5], s[6:7]
	s_add_nc_u64 s[6:7], s[24:25], s[26:27]
	;; [unrolled: 1-line block ×4, first 2 shown]
	s_delay_alu instid0(VALU_DEP_2) | instskip(SKIP_2) | instid1(VALU_DEP_2)
	v_lshl_add_u64 v[8:9], v[4:5], 4, s[4:5]
	v_mov_b64_e32 v[4:5], 0
	s_lshl_b64 s[4:5], s[30:31], 4
	v_add_nc_u64_e32 v[8:9], 8, v[8:9]
	s_delay_alu instid0(VALU_DEP_4) | instskip(SKIP_1) | instid1(VALU_DEP_1)
	v_lshl_add_u64 v[6:7], v[6:7], 4, s[6:7]
	s_lshl_b64 s[6:7], s[8:9], 4
	v_add_nc_u64_e32 v[10:11], 8, v[6:7]
	v_mov_b64_e32 v[6:7], 0
.LBB36_3:                               ; =>This Inner Loop Header: Depth=1
	global_load_b128 v[12:15], v[10:11], off offset:-8
	global_load_b128 v[16:19], v[8:9], off offset:-8
	s_wait_xcnt 0x1
	v_add_nc_u64_e32 v[10:11], s[4:5], v[10:11]
	s_wait_xcnt 0x0
	v_add_nc_u64_e32 v[8:9], s[6:7], v[8:9]
	s_add_nc_u64 s[20:21], s[20:21], -1
	s_delay_alu instid0(SALU_CYCLE_1) | instskip(SKIP_4) | instid1(VALU_DEP_2)
	s_cmp_eq_u64 s[20:21], 0
	s_wait_loadcnt 0x1
	v_xor_b32_e32 v20, 0x80000000, v15
	s_wait_loadcnt 0x0
	v_xor_b32_e32 v21, 0x80000000, v19
	v_cndmask_b32_e32 v15, v15, v20, vcc_lo
	s_delay_alu instid0(VALU_DEP_2) | instskip(NEXT) | instid1(VALU_DEP_1)
	v_cndmask_b32_e64 v19, v19, v21, s2
	v_mul_f64_e32 v[20:21], v[14:15], v[18:19]
	v_mul_f64_e32 v[14:15], v[14:15], v[16:17]
	s_delay_alu instid0(VALU_DEP_2) | instskip(NEXT) | instid1(VALU_DEP_2)
	v_fma_f64 v[16:17], v[12:13], v[16:17], -v[20:21]
	v_fmac_f64_e32 v[14:15], v[12:13], v[18:19]
	s_delay_alu instid0(VALU_DEP_2) | instskip(NEXT) | instid1(VALU_DEP_2)
	v_add_f64_e32 v[6:7], v[6:7], v[16:17]
	v_add_f64_e32 v[4:5], v[4:5], v[14:15]
	s_cbranch_scc0 .LBB36_3
	s_branch .LBB36_5
.LBB36_4:
	v_mov_b64_e32 v[4:5], 0
	v_mov_b64_e32 v[6:7], 0
.LBB36_5:
	s_wait_kmcnt 0x0
	s_load_b256 s[4:11], s[0:1], 0xa0
	s_delay_alu instid0(VALU_DEP_1)
	v_mul_f64_e32 v[10:11], s[34:35], v[4:5]
	v_mul_f64_e32 v[4:5], s[22:23], v[4:5]
	s_wait_kmcnt 0x0
	v_mul_u64_e32 v[2:3], s[6:7], v[2:3]
	v_mul_u64_e32 v[0:1], s[8:9], v[0:1]
	s_mul_u64 s[0:1], s[10:11], s[36:37]
	s_lshl_b64 s[2:3], s[4:5], 4
	s_lshl_b64 s[0:1], s[0:1], 4
	s_delay_alu instid0(SALU_CYCLE_1) | instskip(NEXT) | instid1(SALU_CYCLE_1)
	s_add_nc_u64 s[0:1], s[18:19], s[0:1]
	s_add_nc_u64 s[0:1], s[0:1], s[2:3]
	s_delay_alu instid0(VALU_DEP_4) | instskip(NEXT) | instid1(VALU_DEP_4)
	v_fma_f64 v[10:11], s[22:23], v[6:7], -v[10:11]
	v_fmac_f64_e32 v[4:5], s[34:35], v[6:7]
	s_delay_alu instid0(VALU_DEP_4) | instskip(NEXT) | instid1(VALU_DEP_1)
	v_lshl_add_u64 v[2:3], v[2:3], 4, s[0:1]
	v_lshl_add_u64 v[8:9], v[0:1], 4, v[2:3]
	global_load_b128 v[0:3], v[8:9], off
	s_wait_loadcnt 0x0
	v_mul_f64_e32 v[12:13], s[16:17], v[2:3]
	v_mul_f64_e32 v[2:3], s[14:15], v[2:3]
	s_delay_alu instid0(VALU_DEP_2) | instskip(NEXT) | instid1(VALU_DEP_2)
	v_fma_f64 v[6:7], s[14:15], v[0:1], -v[12:13]
	v_fmac_f64_e32 v[2:3], s[16:17], v[0:1]
	s_delay_alu instid0(VALU_DEP_2) | instskip(NEXT) | instid1(VALU_DEP_2)
	v_add_f64_e32 v[0:1], v[10:11], v[6:7]
	v_add_f64_e32 v[2:3], v[4:5], v[2:3]
	global_store_b128 v[8:9], v[0:3], off
.LBB36_6:
	s_endpgm
	.section	.rodata,"a",@progbits
	.p2align	6, 0x0
	.amdhsa_kernel _ZN9rocsolver6v33100L11gemm_kernelI19rocblas_complex_numIdElS3_PS3_S4_S4_EEvT0_S5_S5_T1_bT2_lS5_S5_lbT3_lS5_S5_lS6_T4_lS5_S5_l
		.amdhsa_group_segment_fixed_size 0
		.amdhsa_private_segment_fixed_size 0
		.amdhsa_kernarg_size 448
		.amdhsa_user_sgpr_count 2
		.amdhsa_user_sgpr_dispatch_ptr 0
		.amdhsa_user_sgpr_queue_ptr 0
		.amdhsa_user_sgpr_kernarg_segment_ptr 1
		.amdhsa_user_sgpr_dispatch_id 0
		.amdhsa_user_sgpr_kernarg_preload_length 0
		.amdhsa_user_sgpr_kernarg_preload_offset 0
		.amdhsa_user_sgpr_private_segment_size 0
		.amdhsa_wavefront_size32 1
		.amdhsa_uses_dynamic_stack 0
		.amdhsa_enable_private_segment 0
		.amdhsa_system_sgpr_workgroup_id_x 1
		.amdhsa_system_sgpr_workgroup_id_y 1
		.amdhsa_system_sgpr_workgroup_id_z 1
		.amdhsa_system_sgpr_workgroup_info 0
		.amdhsa_system_vgpr_workitem_id 1
		.amdhsa_next_free_vgpr 22
		.amdhsa_next_free_sgpr 43
		.amdhsa_named_barrier_count 0
		.amdhsa_reserve_vcc 1
		.amdhsa_float_round_mode_32 0
		.amdhsa_float_round_mode_16_64 0
		.amdhsa_float_denorm_mode_32 3
		.amdhsa_float_denorm_mode_16_64 3
		.amdhsa_fp16_overflow 0
		.amdhsa_memory_ordered 1
		.amdhsa_forward_progress 1
		.amdhsa_inst_pref_size 6
		.amdhsa_round_robin_scheduling 0
		.amdhsa_exception_fp_ieee_invalid_op 0
		.amdhsa_exception_fp_denorm_src 0
		.amdhsa_exception_fp_ieee_div_zero 0
		.amdhsa_exception_fp_ieee_overflow 0
		.amdhsa_exception_fp_ieee_underflow 0
		.amdhsa_exception_fp_ieee_inexact 0
		.amdhsa_exception_int_div_zero 0
	.end_amdhsa_kernel
	.section	.text._ZN9rocsolver6v33100L11gemm_kernelI19rocblas_complex_numIdElS3_PS3_S4_S4_EEvT0_S5_S5_T1_bT2_lS5_S5_lbT3_lS5_S5_lS6_T4_lS5_S5_l,"axG",@progbits,_ZN9rocsolver6v33100L11gemm_kernelI19rocblas_complex_numIdElS3_PS3_S4_S4_EEvT0_S5_S5_T1_bT2_lS5_S5_lbT3_lS5_S5_lS6_T4_lS5_S5_l,comdat
.Lfunc_end36:
	.size	_ZN9rocsolver6v33100L11gemm_kernelI19rocblas_complex_numIdElS3_PS3_S4_S4_EEvT0_S5_S5_T1_bT2_lS5_S5_lbT3_lS5_S5_lS6_T4_lS5_S5_l, .Lfunc_end36-_ZN9rocsolver6v33100L11gemm_kernelI19rocblas_complex_numIdElS3_PS3_S4_S4_EEvT0_S5_S5_T1_bT2_lS5_S5_lbT3_lS5_S5_lS6_T4_lS5_S5_l
                                        ; -- End function
	.set _ZN9rocsolver6v33100L11gemm_kernelI19rocblas_complex_numIdElS3_PS3_S4_S4_EEvT0_S5_S5_T1_bT2_lS5_S5_lbT3_lS5_S5_lS6_T4_lS5_S5_l.num_vgpr, 22
	.set _ZN9rocsolver6v33100L11gemm_kernelI19rocblas_complex_numIdElS3_PS3_S4_S4_EEvT0_S5_S5_T1_bT2_lS5_S5_lbT3_lS5_S5_lS6_T4_lS5_S5_l.num_agpr, 0
	.set _ZN9rocsolver6v33100L11gemm_kernelI19rocblas_complex_numIdElS3_PS3_S4_S4_EEvT0_S5_S5_T1_bT2_lS5_S5_lbT3_lS5_S5_lS6_T4_lS5_S5_l.numbered_sgpr, 43
	.set _ZN9rocsolver6v33100L11gemm_kernelI19rocblas_complex_numIdElS3_PS3_S4_S4_EEvT0_S5_S5_T1_bT2_lS5_S5_lbT3_lS5_S5_lS6_T4_lS5_S5_l.num_named_barrier, 0
	.set _ZN9rocsolver6v33100L11gemm_kernelI19rocblas_complex_numIdElS3_PS3_S4_S4_EEvT0_S5_S5_T1_bT2_lS5_S5_lbT3_lS5_S5_lS6_T4_lS5_S5_l.private_seg_size, 0
	.set _ZN9rocsolver6v33100L11gemm_kernelI19rocblas_complex_numIdElS3_PS3_S4_S4_EEvT0_S5_S5_T1_bT2_lS5_S5_lbT3_lS5_S5_lS6_T4_lS5_S5_l.uses_vcc, 1
	.set _ZN9rocsolver6v33100L11gemm_kernelI19rocblas_complex_numIdElS3_PS3_S4_S4_EEvT0_S5_S5_T1_bT2_lS5_S5_lbT3_lS5_S5_lS6_T4_lS5_S5_l.uses_flat_scratch, 0
	.set _ZN9rocsolver6v33100L11gemm_kernelI19rocblas_complex_numIdElS3_PS3_S4_S4_EEvT0_S5_S5_T1_bT2_lS5_S5_lbT3_lS5_S5_lS6_T4_lS5_S5_l.has_dyn_sized_stack, 0
	.set _ZN9rocsolver6v33100L11gemm_kernelI19rocblas_complex_numIdElS3_PS3_S4_S4_EEvT0_S5_S5_T1_bT2_lS5_S5_lbT3_lS5_S5_lS6_T4_lS5_S5_l.has_recursion, 0
	.set _ZN9rocsolver6v33100L11gemm_kernelI19rocblas_complex_numIdElS3_PS3_S4_S4_EEvT0_S5_S5_T1_bT2_lS5_S5_lbT3_lS5_S5_lS6_T4_lS5_S5_l.has_indirect_call, 0
	.section	.AMDGPU.csdata,"",@progbits
; Kernel info:
; codeLenInByte = 724
; TotalNumSgprs: 45
; NumVgprs: 22
; ScratchSize: 0
; MemoryBound: 0
; FloatMode: 240
; IeeeMode: 1
; LDSByteSize: 0 bytes/workgroup (compile time only)
; SGPRBlocks: 0
; VGPRBlocks: 1
; NumSGPRsForWavesPerEU: 45
; NumVGPRsForWavesPerEU: 22
; NamedBarCnt: 0
; Occupancy: 16
; WaveLimiterHint : 0
; COMPUTE_PGM_RSRC2:SCRATCH_EN: 0
; COMPUTE_PGM_RSRC2:USER_SGPR: 2
; COMPUTE_PGM_RSRC2:TRAP_HANDLER: 0
; COMPUTE_PGM_RSRC2:TGID_X_EN: 1
; COMPUTE_PGM_RSRC2:TGID_Y_EN: 1
; COMPUTE_PGM_RSRC2:TGID_Z_EN: 1
; COMPUTE_PGM_RSRC2:TIDIG_COMP_CNT: 1
	.section	.text._ZN9rocsolver6v33100L16mfma_gemm_kernelI19rocblas_complex_numIdElPKS3_PKPS3_S8_S8_EEv18rocblas_operation_S9_T0_SA_SA_T1_T2_lSA_SA_lT3_lSA_SA_lSB_T4_lSA_SA_l,"axG",@progbits,_ZN9rocsolver6v33100L16mfma_gemm_kernelI19rocblas_complex_numIdElPKS3_PKPS3_S8_S8_EEv18rocblas_operation_S9_T0_SA_SA_T1_T2_lSA_SA_lT3_lSA_SA_lSB_T4_lSA_SA_l,comdat
	.globl	_ZN9rocsolver6v33100L16mfma_gemm_kernelI19rocblas_complex_numIdElPKS3_PKPS3_S8_S8_EEv18rocblas_operation_S9_T0_SA_SA_T1_T2_lSA_SA_lT3_lSA_SA_lSB_T4_lSA_SA_l ; -- Begin function _ZN9rocsolver6v33100L16mfma_gemm_kernelI19rocblas_complex_numIdElPKS3_PKPS3_S8_S8_EEv18rocblas_operation_S9_T0_SA_SA_T1_T2_lSA_SA_lT3_lSA_SA_lSB_T4_lSA_SA_l
	.p2align	8
	.type	_ZN9rocsolver6v33100L16mfma_gemm_kernelI19rocblas_complex_numIdElPKS3_PKPS3_S8_S8_EEv18rocblas_operation_S9_T0_SA_SA_T1_T2_lSA_SA_lT3_lSA_SA_lSB_T4_lSA_SA_l,@function
_ZN9rocsolver6v33100L16mfma_gemm_kernelI19rocblas_complex_numIdElPKS3_PKPS3_S8_S8_EEv18rocblas_operation_S9_T0_SA_SA_T1_T2_lSA_SA_lT3_lSA_SA_lSB_T4_lSA_SA_l: ; @_ZN9rocsolver6v33100L16mfma_gemm_kernelI19rocblas_complex_numIdElPKS3_PKPS3_S8_S8_EEv18rocblas_operation_S9_T0_SA_SA_T1_T2_lSA_SA_lT3_lSA_SA_lSB_T4_lSA_SA_l
; %bb.0:
	s_endpgm
	.section	.rodata,"a",@progbits
	.p2align	6, 0x0
	.amdhsa_kernel _ZN9rocsolver6v33100L16mfma_gemm_kernelI19rocblas_complex_numIdElPKS3_PKPS3_S8_S8_EEv18rocblas_operation_S9_T0_SA_SA_T1_T2_lSA_SA_lT3_lSA_SA_lSB_T4_lSA_SA_l
		.amdhsa_group_segment_fixed_size 0
		.amdhsa_private_segment_fixed_size 0
		.amdhsa_kernarg_size 168
		.amdhsa_user_sgpr_count 2
		.amdhsa_user_sgpr_dispatch_ptr 0
		.amdhsa_user_sgpr_queue_ptr 0
		.amdhsa_user_sgpr_kernarg_segment_ptr 1
		.amdhsa_user_sgpr_dispatch_id 0
		.amdhsa_user_sgpr_kernarg_preload_length 0
		.amdhsa_user_sgpr_kernarg_preload_offset 0
		.amdhsa_user_sgpr_private_segment_size 0
		.amdhsa_wavefront_size32 1
		.amdhsa_uses_dynamic_stack 0
		.amdhsa_enable_private_segment 0
		.amdhsa_system_sgpr_workgroup_id_x 1
		.amdhsa_system_sgpr_workgroup_id_y 0
		.amdhsa_system_sgpr_workgroup_id_z 0
		.amdhsa_system_sgpr_workgroup_info 0
		.amdhsa_system_vgpr_workitem_id 0
		.amdhsa_next_free_vgpr 1
		.amdhsa_next_free_sgpr 1
		.amdhsa_named_barrier_count 0
		.amdhsa_reserve_vcc 0
		.amdhsa_float_round_mode_32 0
		.amdhsa_float_round_mode_16_64 0
		.amdhsa_float_denorm_mode_32 3
		.amdhsa_float_denorm_mode_16_64 3
		.amdhsa_fp16_overflow 0
		.amdhsa_memory_ordered 1
		.amdhsa_forward_progress 1
		.amdhsa_inst_pref_size 1
		.amdhsa_round_robin_scheduling 0
		.amdhsa_exception_fp_ieee_invalid_op 0
		.amdhsa_exception_fp_denorm_src 0
		.amdhsa_exception_fp_ieee_div_zero 0
		.amdhsa_exception_fp_ieee_overflow 0
		.amdhsa_exception_fp_ieee_underflow 0
		.amdhsa_exception_fp_ieee_inexact 0
		.amdhsa_exception_int_div_zero 0
	.end_amdhsa_kernel
	.section	.text._ZN9rocsolver6v33100L16mfma_gemm_kernelI19rocblas_complex_numIdElPKS3_PKPS3_S8_S8_EEv18rocblas_operation_S9_T0_SA_SA_T1_T2_lSA_SA_lT3_lSA_SA_lSB_T4_lSA_SA_l,"axG",@progbits,_ZN9rocsolver6v33100L16mfma_gemm_kernelI19rocblas_complex_numIdElPKS3_PKPS3_S8_S8_EEv18rocblas_operation_S9_T0_SA_SA_T1_T2_lSA_SA_lT3_lSA_SA_lSB_T4_lSA_SA_l,comdat
.Lfunc_end37:
	.size	_ZN9rocsolver6v33100L16mfma_gemm_kernelI19rocblas_complex_numIdElPKS3_PKPS3_S8_S8_EEv18rocblas_operation_S9_T0_SA_SA_T1_T2_lSA_SA_lT3_lSA_SA_lSB_T4_lSA_SA_l, .Lfunc_end37-_ZN9rocsolver6v33100L16mfma_gemm_kernelI19rocblas_complex_numIdElPKS3_PKPS3_S8_S8_EEv18rocblas_operation_S9_T0_SA_SA_T1_T2_lSA_SA_lT3_lSA_SA_lSB_T4_lSA_SA_l
                                        ; -- End function
	.set _ZN9rocsolver6v33100L16mfma_gemm_kernelI19rocblas_complex_numIdElPKS3_PKPS3_S8_S8_EEv18rocblas_operation_S9_T0_SA_SA_T1_T2_lSA_SA_lT3_lSA_SA_lSB_T4_lSA_SA_l.num_vgpr, 0
	.set _ZN9rocsolver6v33100L16mfma_gemm_kernelI19rocblas_complex_numIdElPKS3_PKPS3_S8_S8_EEv18rocblas_operation_S9_T0_SA_SA_T1_T2_lSA_SA_lT3_lSA_SA_lSB_T4_lSA_SA_l.num_agpr, 0
	.set _ZN9rocsolver6v33100L16mfma_gemm_kernelI19rocblas_complex_numIdElPKS3_PKPS3_S8_S8_EEv18rocblas_operation_S9_T0_SA_SA_T1_T2_lSA_SA_lT3_lSA_SA_lSB_T4_lSA_SA_l.numbered_sgpr, 0
	.set _ZN9rocsolver6v33100L16mfma_gemm_kernelI19rocblas_complex_numIdElPKS3_PKPS3_S8_S8_EEv18rocblas_operation_S9_T0_SA_SA_T1_T2_lSA_SA_lT3_lSA_SA_lSB_T4_lSA_SA_l.num_named_barrier, 0
	.set _ZN9rocsolver6v33100L16mfma_gemm_kernelI19rocblas_complex_numIdElPKS3_PKPS3_S8_S8_EEv18rocblas_operation_S9_T0_SA_SA_T1_T2_lSA_SA_lT3_lSA_SA_lSB_T4_lSA_SA_l.private_seg_size, 0
	.set _ZN9rocsolver6v33100L16mfma_gemm_kernelI19rocblas_complex_numIdElPKS3_PKPS3_S8_S8_EEv18rocblas_operation_S9_T0_SA_SA_T1_T2_lSA_SA_lT3_lSA_SA_lSB_T4_lSA_SA_l.uses_vcc, 0
	.set _ZN9rocsolver6v33100L16mfma_gemm_kernelI19rocblas_complex_numIdElPKS3_PKPS3_S8_S8_EEv18rocblas_operation_S9_T0_SA_SA_T1_T2_lSA_SA_lT3_lSA_SA_lSB_T4_lSA_SA_l.uses_flat_scratch, 0
	.set _ZN9rocsolver6v33100L16mfma_gemm_kernelI19rocblas_complex_numIdElPKS3_PKPS3_S8_S8_EEv18rocblas_operation_S9_T0_SA_SA_T1_T2_lSA_SA_lT3_lSA_SA_lSB_T4_lSA_SA_l.has_dyn_sized_stack, 0
	.set _ZN9rocsolver6v33100L16mfma_gemm_kernelI19rocblas_complex_numIdElPKS3_PKPS3_S8_S8_EEv18rocblas_operation_S9_T0_SA_SA_T1_T2_lSA_SA_lT3_lSA_SA_lSB_T4_lSA_SA_l.has_recursion, 0
	.set _ZN9rocsolver6v33100L16mfma_gemm_kernelI19rocblas_complex_numIdElPKS3_PKPS3_S8_S8_EEv18rocblas_operation_S9_T0_SA_SA_T1_T2_lSA_SA_lT3_lSA_SA_lSB_T4_lSA_SA_l.has_indirect_call, 0
	.section	.AMDGPU.csdata,"",@progbits
; Kernel info:
; codeLenInByte = 4
; TotalNumSgprs: 0
; NumVgprs: 0
; ScratchSize: 0
; MemoryBound: 0
; FloatMode: 240
; IeeeMode: 1
; LDSByteSize: 0 bytes/workgroup (compile time only)
; SGPRBlocks: 0
; VGPRBlocks: 0
; NumSGPRsForWavesPerEU: 1
; NumVGPRsForWavesPerEU: 1
; NamedBarCnt: 0
; Occupancy: 16
; WaveLimiterHint : 0
; COMPUTE_PGM_RSRC2:SCRATCH_EN: 0
; COMPUTE_PGM_RSRC2:USER_SGPR: 2
; COMPUTE_PGM_RSRC2:TRAP_HANDLER: 0
; COMPUTE_PGM_RSRC2:TGID_X_EN: 1
; COMPUTE_PGM_RSRC2:TGID_Y_EN: 0
; COMPUTE_PGM_RSRC2:TGID_Z_EN: 0
; COMPUTE_PGM_RSRC2:TIDIG_COMP_CNT: 0
	.section	.text._ZN9rocsolver6v33100L16mfma_gemm_kernelI19rocblas_complex_numIdElS3_PKPS3_S6_S6_EEv18rocblas_operation_S7_T0_S8_S8_T1_T2_lS8_S8_lT3_lS8_S8_lS9_T4_lS8_S8_l,"axG",@progbits,_ZN9rocsolver6v33100L16mfma_gemm_kernelI19rocblas_complex_numIdElS3_PKPS3_S6_S6_EEv18rocblas_operation_S7_T0_S8_S8_T1_T2_lS8_S8_lT3_lS8_S8_lS9_T4_lS8_S8_l,comdat
	.globl	_ZN9rocsolver6v33100L16mfma_gemm_kernelI19rocblas_complex_numIdElS3_PKPS3_S6_S6_EEv18rocblas_operation_S7_T0_S8_S8_T1_T2_lS8_S8_lT3_lS8_S8_lS9_T4_lS8_S8_l ; -- Begin function _ZN9rocsolver6v33100L16mfma_gemm_kernelI19rocblas_complex_numIdElS3_PKPS3_S6_S6_EEv18rocblas_operation_S7_T0_S8_S8_T1_T2_lS8_S8_lT3_lS8_S8_lS9_T4_lS8_S8_l
	.p2align	8
	.type	_ZN9rocsolver6v33100L16mfma_gemm_kernelI19rocblas_complex_numIdElS3_PKPS3_S6_S6_EEv18rocblas_operation_S7_T0_S8_S8_T1_T2_lS8_S8_lT3_lS8_S8_lS9_T4_lS8_S8_l,@function
_ZN9rocsolver6v33100L16mfma_gemm_kernelI19rocblas_complex_numIdElS3_PKPS3_S6_S6_EEv18rocblas_operation_S7_T0_S8_S8_T1_T2_lS8_S8_lT3_lS8_S8_lS9_T4_lS8_S8_l: ; @_ZN9rocsolver6v33100L16mfma_gemm_kernelI19rocblas_complex_numIdElS3_PKPS3_S6_S6_EEv18rocblas_operation_S7_T0_S8_S8_T1_T2_lS8_S8_lT3_lS8_S8_lS9_T4_lS8_S8_l
; %bb.0:
	s_endpgm
	.section	.rodata,"a",@progbits
	.p2align	6, 0x0
	.amdhsa_kernel _ZN9rocsolver6v33100L16mfma_gemm_kernelI19rocblas_complex_numIdElS3_PKPS3_S6_S6_EEv18rocblas_operation_S7_T0_S8_S8_T1_T2_lS8_S8_lT3_lS8_S8_lS9_T4_lS8_S8_l
		.amdhsa_group_segment_fixed_size 0
		.amdhsa_private_segment_fixed_size 0
		.amdhsa_kernarg_size 184
		.amdhsa_user_sgpr_count 2
		.amdhsa_user_sgpr_dispatch_ptr 0
		.amdhsa_user_sgpr_queue_ptr 0
		.amdhsa_user_sgpr_kernarg_segment_ptr 1
		.amdhsa_user_sgpr_dispatch_id 0
		.amdhsa_user_sgpr_kernarg_preload_length 0
		.amdhsa_user_sgpr_kernarg_preload_offset 0
		.amdhsa_user_sgpr_private_segment_size 0
		.amdhsa_wavefront_size32 1
		.amdhsa_uses_dynamic_stack 0
		.amdhsa_enable_private_segment 0
		.amdhsa_system_sgpr_workgroup_id_x 1
		.amdhsa_system_sgpr_workgroup_id_y 0
		.amdhsa_system_sgpr_workgroup_id_z 0
		.amdhsa_system_sgpr_workgroup_info 0
		.amdhsa_system_vgpr_workitem_id 0
		.amdhsa_next_free_vgpr 1
		.amdhsa_next_free_sgpr 1
		.amdhsa_named_barrier_count 0
		.amdhsa_reserve_vcc 0
		.amdhsa_float_round_mode_32 0
		.amdhsa_float_round_mode_16_64 0
		.amdhsa_float_denorm_mode_32 3
		.amdhsa_float_denorm_mode_16_64 3
		.amdhsa_fp16_overflow 0
		.amdhsa_memory_ordered 1
		.amdhsa_forward_progress 1
		.amdhsa_inst_pref_size 1
		.amdhsa_round_robin_scheduling 0
		.amdhsa_exception_fp_ieee_invalid_op 0
		.amdhsa_exception_fp_denorm_src 0
		.amdhsa_exception_fp_ieee_div_zero 0
		.amdhsa_exception_fp_ieee_overflow 0
		.amdhsa_exception_fp_ieee_underflow 0
		.amdhsa_exception_fp_ieee_inexact 0
		.amdhsa_exception_int_div_zero 0
	.end_amdhsa_kernel
	.section	.text._ZN9rocsolver6v33100L16mfma_gemm_kernelI19rocblas_complex_numIdElS3_PKPS3_S6_S6_EEv18rocblas_operation_S7_T0_S8_S8_T1_T2_lS8_S8_lT3_lS8_S8_lS9_T4_lS8_S8_l,"axG",@progbits,_ZN9rocsolver6v33100L16mfma_gemm_kernelI19rocblas_complex_numIdElS3_PKPS3_S6_S6_EEv18rocblas_operation_S7_T0_S8_S8_T1_T2_lS8_S8_lT3_lS8_S8_lS9_T4_lS8_S8_l,comdat
.Lfunc_end38:
	.size	_ZN9rocsolver6v33100L16mfma_gemm_kernelI19rocblas_complex_numIdElS3_PKPS3_S6_S6_EEv18rocblas_operation_S7_T0_S8_S8_T1_T2_lS8_S8_lT3_lS8_S8_lS9_T4_lS8_S8_l, .Lfunc_end38-_ZN9rocsolver6v33100L16mfma_gemm_kernelI19rocblas_complex_numIdElS3_PKPS3_S6_S6_EEv18rocblas_operation_S7_T0_S8_S8_T1_T2_lS8_S8_lT3_lS8_S8_lS9_T4_lS8_S8_l
                                        ; -- End function
	.set _ZN9rocsolver6v33100L16mfma_gemm_kernelI19rocblas_complex_numIdElS3_PKPS3_S6_S6_EEv18rocblas_operation_S7_T0_S8_S8_T1_T2_lS8_S8_lT3_lS8_S8_lS9_T4_lS8_S8_l.num_vgpr, 0
	.set _ZN9rocsolver6v33100L16mfma_gemm_kernelI19rocblas_complex_numIdElS3_PKPS3_S6_S6_EEv18rocblas_operation_S7_T0_S8_S8_T1_T2_lS8_S8_lT3_lS8_S8_lS9_T4_lS8_S8_l.num_agpr, 0
	.set _ZN9rocsolver6v33100L16mfma_gemm_kernelI19rocblas_complex_numIdElS3_PKPS3_S6_S6_EEv18rocblas_operation_S7_T0_S8_S8_T1_T2_lS8_S8_lT3_lS8_S8_lS9_T4_lS8_S8_l.numbered_sgpr, 0
	.set _ZN9rocsolver6v33100L16mfma_gemm_kernelI19rocblas_complex_numIdElS3_PKPS3_S6_S6_EEv18rocblas_operation_S7_T0_S8_S8_T1_T2_lS8_S8_lT3_lS8_S8_lS9_T4_lS8_S8_l.num_named_barrier, 0
	.set _ZN9rocsolver6v33100L16mfma_gemm_kernelI19rocblas_complex_numIdElS3_PKPS3_S6_S6_EEv18rocblas_operation_S7_T0_S8_S8_T1_T2_lS8_S8_lT3_lS8_S8_lS9_T4_lS8_S8_l.private_seg_size, 0
	.set _ZN9rocsolver6v33100L16mfma_gemm_kernelI19rocblas_complex_numIdElS3_PKPS3_S6_S6_EEv18rocblas_operation_S7_T0_S8_S8_T1_T2_lS8_S8_lT3_lS8_S8_lS9_T4_lS8_S8_l.uses_vcc, 0
	.set _ZN9rocsolver6v33100L16mfma_gemm_kernelI19rocblas_complex_numIdElS3_PKPS3_S6_S6_EEv18rocblas_operation_S7_T0_S8_S8_T1_T2_lS8_S8_lT3_lS8_S8_lS9_T4_lS8_S8_l.uses_flat_scratch, 0
	.set _ZN9rocsolver6v33100L16mfma_gemm_kernelI19rocblas_complex_numIdElS3_PKPS3_S6_S6_EEv18rocblas_operation_S7_T0_S8_S8_T1_T2_lS8_S8_lT3_lS8_S8_lS9_T4_lS8_S8_l.has_dyn_sized_stack, 0
	.set _ZN9rocsolver6v33100L16mfma_gemm_kernelI19rocblas_complex_numIdElS3_PKPS3_S6_S6_EEv18rocblas_operation_S7_T0_S8_S8_T1_T2_lS8_S8_lT3_lS8_S8_lS9_T4_lS8_S8_l.has_recursion, 0
	.set _ZN9rocsolver6v33100L16mfma_gemm_kernelI19rocblas_complex_numIdElS3_PKPS3_S6_S6_EEv18rocblas_operation_S7_T0_S8_S8_T1_T2_lS8_S8_lT3_lS8_S8_lS9_T4_lS8_S8_l.has_indirect_call, 0
	.section	.AMDGPU.csdata,"",@progbits
; Kernel info:
; codeLenInByte = 4
; TotalNumSgprs: 0
; NumVgprs: 0
; ScratchSize: 0
; MemoryBound: 0
; FloatMode: 240
; IeeeMode: 1
; LDSByteSize: 0 bytes/workgroup (compile time only)
; SGPRBlocks: 0
; VGPRBlocks: 0
; NumSGPRsForWavesPerEU: 1
; NumVGPRsForWavesPerEU: 1
; NamedBarCnt: 0
; Occupancy: 16
; WaveLimiterHint : 0
; COMPUTE_PGM_RSRC2:SCRATCH_EN: 0
; COMPUTE_PGM_RSRC2:USER_SGPR: 2
; COMPUTE_PGM_RSRC2:TRAP_HANDLER: 0
; COMPUTE_PGM_RSRC2:TGID_X_EN: 1
; COMPUTE_PGM_RSRC2:TGID_Y_EN: 0
; COMPUTE_PGM_RSRC2:TGID_Z_EN: 0
; COMPUTE_PGM_RSRC2:TIDIG_COMP_CNT: 0
	.section	.text._ZN9rocsolver6v33100L11gemm_kernelI19rocblas_complex_numIdElPKS3_PKPS3_S8_S8_EEvT0_S9_S9_T1_bT2_lS9_S9_lbT3_lS9_S9_lSA_T4_lS9_S9_l,"axG",@progbits,_ZN9rocsolver6v33100L11gemm_kernelI19rocblas_complex_numIdElPKS3_PKPS3_S8_S8_EEvT0_S9_S9_T1_bT2_lS9_S9_lbT3_lS9_S9_lSA_T4_lS9_S9_l,comdat
	.globl	_ZN9rocsolver6v33100L11gemm_kernelI19rocblas_complex_numIdElPKS3_PKPS3_S8_S8_EEvT0_S9_S9_T1_bT2_lS9_S9_lbT3_lS9_S9_lSA_T4_lS9_S9_l ; -- Begin function _ZN9rocsolver6v33100L11gemm_kernelI19rocblas_complex_numIdElPKS3_PKPS3_S8_S8_EEvT0_S9_S9_T1_bT2_lS9_S9_lbT3_lS9_S9_lSA_T4_lS9_S9_l
	.p2align	8
	.type	_ZN9rocsolver6v33100L11gemm_kernelI19rocblas_complex_numIdElPKS3_PKPS3_S8_S8_EEvT0_S9_S9_T1_bT2_lS9_S9_lbT3_lS9_S9_lSA_T4_lS9_S9_l,@function
_ZN9rocsolver6v33100L11gemm_kernelI19rocblas_complex_numIdElPKS3_PKPS3_S8_S8_EEvT0_S9_S9_T1_bT2_lS9_S9_lbT3_lS9_S9_lSA_T4_lS9_S9_l: ; @_ZN9rocsolver6v33100L11gemm_kernelI19rocblas_complex_numIdElPKS3_PKPS3_S8_S8_EEvT0_S9_S9_T1_bT2_lS9_S9_lbT3_lS9_S9_lSA_T4_lS9_S9_l
; %bb.0:
	s_load_b32 s2, s[0:1], 0xbc
	s_bfe_u32 s13, ttmp6, 0x40010
	s_bfe_u32 s16, ttmp6, 0x4000c
	s_and_b32 s12, ttmp7, 0xffff
	s_add_co_i32 s13, s13, 1
	s_add_co_i32 s16, s16, 1
	s_bfe_u32 s14, ttmp6, 0x40004
	s_and_b32 s15, ttmp6, 15
	s_mul_i32 s13, s12, s13
	s_mul_i32 s16, ttmp9, s16
	s_getreg_b32 s3, hwreg(HW_REG_IB_STS2, 6, 4)
	v_mov_b32_e32 v5, 0
	v_and_b32_e32 v4, 0x3ff, v0
	s_add_co_i32 s14, s14, s13
	s_add_co_i32 s15, s15, s16
	s_load_b256 s[4:11], s[0:1], 0x0
	s_wait_kmcnt 0x0
	s_lshr_b32 s13, s2, 16
	s_and_b32 s2, s2, 0xffff
	s_cmp_eq_u32 s3, 0
	s_cselect_b32 s15, ttmp9, s15
	s_delay_alu instid0(SALU_CYCLE_1)
	v_mad_nc_u64_u32 v[2:3], s2, s15, v[4:5]
	v_bfe_u32 v4, v0, 10, 10
	s_cselect_b32 s2, s12, s14
	s_delay_alu instid0(VALU_DEP_1) | instid1(SALU_CYCLE_1)
	v_mad_nc_u64_u32 v[0:1], s13, s2, v[4:5]
	s_delay_alu instid0(VALU_DEP_3) | instskip(NEXT) | instid1(VALU_DEP_2)
	v_cmp_gt_i64_e32 vcc_lo, s[4:5], v[2:3]
	v_cmp_gt_i64_e64 s2, s[6:7], v[0:1]
	s_and_b32 s2, vcc_lo, s2
	s_delay_alu instid0(SALU_CYCLE_1)
	s_and_saveexec_b32 s4, s2
	s_cbranch_execz .LBB39_6
; %bb.1:
	s_clause 0x1
	s_load_b256 s[12:19], s[0:1], 0x80
	s_load_b64 s[28:29], s[0:1], 0xa0
	s_bfe_u32 s2, ttmp6, 0x40014
	s_lshr_b32 s4, ttmp7, 16
	s_add_co_i32 s2, s2, 1
	v_cmp_lt_i64_e64 s5, s[8:9], 1
	s_mul_i32 s2, s4, s2
	s_bfe_u32 s6, ttmp6, 0x40008
	s_delay_alu instid0(SALU_CYCLE_1)
	s_add_co_i32 s6, s6, s2
	s_cmp_eq_u32 s3, 0
	s_cselect_b32 s30, s4, s6
	s_and_b32 vcc_lo, exec_lo, s5
	s_cbranch_vccnz .LBB39_4
; %bb.2:
	s_clause 0x3
	s_load_b256 s[20:27], s[0:1], 0x28
	s_load_b256 s[36:43], s[0:1], 0x58
	s_load_b32 s6, s[0:1], 0x20
	s_load_b32 s7, s[0:1], 0x50
	s_wait_kmcnt 0x0
	s_load_b64 s[2:3], s[20:21], s30 offset:0x0 scale_offset
	s_load_b64 s[4:5], s[36:37], s30 offset:0x0 scale_offset
	v_mul_u64_e32 v[4:5], s[24:25], v[2:3]
	v_mul_u64_e32 v[6:7], s[42:43], v[0:1]
	s_bitcmp1_b32 s6, 0
	s_cselect_b32 vcc_lo, -1, 0
	s_bitcmp1_b32 s7, 0
	s_cselect_b32 s0, -1, 0
	s_lshl_b64 s[6:7], s[22:23], 4
	s_wait_xcnt 0x0
	s_lshl_b64 s[20:21], s[38:39], 4
	s_wait_kmcnt 0x0
	s_add_nc_u64 s[2:3], s[2:3], s[6:7]
	s_add_nc_u64 s[4:5], s[4:5], s[20:21]
	s_delay_alu instid0(VALU_DEP_2) | instskip(NEXT) | instid1(VALU_DEP_2)
	v_lshl_add_u64 v[8:9], v[4:5], 4, s[2:3]
	v_lshl_add_u64 v[6:7], v[6:7], 4, s[4:5]
	v_mov_b64_e32 v[4:5], 0
	s_lshl_b64 s[2:3], s[26:27], 4
	s_lshl_b64 s[4:5], s[40:41], 4
	v_add_nc_u64_e32 v[8:9], 8, v[8:9]
	v_add_nc_u64_e32 v[10:11], 8, v[6:7]
	v_mov_b64_e32 v[6:7], 0
.LBB39_3:                               ; =>This Inner Loop Header: Depth=1
	flat_load_b128 v[12:15], v[8:9] offset:-8
	flat_load_b128 v[16:19], v[10:11] offset:-8
	s_wait_xcnt 0x1
	v_add_nc_u64_e32 v[8:9], s[2:3], v[8:9]
	s_wait_xcnt 0x0
	v_add_nc_u64_e32 v[10:11], s[4:5], v[10:11]
	s_add_nc_u64 s[8:9], s[8:9], -1
	s_delay_alu instid0(SALU_CYCLE_1) | instskip(SKIP_4) | instid1(VALU_DEP_2)
	s_cmp_eq_u64 s[8:9], 0
	s_wait_loadcnt_dscnt 0x101
	v_xor_b32_e32 v20, 0x80000000, v15
	s_wait_loadcnt_dscnt 0x0
	v_xor_b32_e32 v21, 0x80000000, v19
	v_cndmask_b32_e32 v15, v15, v20, vcc_lo
	s_delay_alu instid0(VALU_DEP_2) | instskip(NEXT) | instid1(VALU_DEP_1)
	v_cndmask_b32_e64 v19, v19, v21, s0
	v_mul_f64_e32 v[20:21], v[14:15], v[18:19]
	v_mul_f64_e32 v[14:15], v[14:15], v[16:17]
	s_delay_alu instid0(VALU_DEP_2) | instskip(NEXT) | instid1(VALU_DEP_2)
	v_fma_f64 v[16:17], v[12:13], v[16:17], -v[20:21]
	v_fmac_f64_e32 v[14:15], v[12:13], v[18:19]
	s_delay_alu instid0(VALU_DEP_2) | instskip(NEXT) | instid1(VALU_DEP_2)
	v_add_f64_e32 v[6:7], v[6:7], v[16:17]
	v_add_f64_e32 v[4:5], v[4:5], v[14:15]
	s_cbranch_scc0 .LBB39_3
	s_branch .LBB39_5
.LBB39_4:
	v_mov_b64_e32 v[4:5], 0
	v_mov_b64_e32 v[6:7], 0
.LBB39_5:
	s_wait_kmcnt 0x0
	v_mul_u64_e32 v[2:3], s[18:19], v[2:3]
	v_mul_u64_e32 v[0:1], s[28:29], v[0:1]
	s_load_b128 s[4:7], s[10:11], 0x0
	s_load_b128 s[0:3], s[12:13], 0x0
	s_load_b64 s[8:9], s[14:15], s30 offset:0x0 scale_offset
	s_wait_xcnt 0x0
	s_lshl_b64 s[10:11], s[16:17], 4
	s_wait_kmcnt 0x0
	s_delay_alu instid0(VALU_DEP_3)
	v_mul_f64_e32 v[10:11], s[6:7], v[4:5]
	v_mul_f64_e32 v[4:5], s[4:5], v[4:5]
	s_add_nc_u64 s[8:9], s[8:9], s[10:11]
	s_delay_alu instid0(VALU_DEP_4) | instid1(SALU_CYCLE_1)
	v_lshl_add_u64 v[2:3], v[2:3], 4, s[8:9]
	s_delay_alu instid0(VALU_DEP_1)
	v_lshl_add_u64 v[8:9], v[0:1], 4, v[2:3]
	flat_load_b128 v[0:3], v[8:9]
	v_fma_f64 v[10:11], s[4:5], v[6:7], -v[10:11]
	v_fmac_f64_e32 v[4:5], s[6:7], v[6:7]
	s_wait_loadcnt_dscnt 0x0
	v_mul_f64_e32 v[12:13], s[2:3], v[2:3]
	v_mul_f64_e32 v[2:3], s[0:1], v[2:3]
	s_delay_alu instid0(VALU_DEP_2) | instskip(NEXT) | instid1(VALU_DEP_2)
	v_fma_f64 v[6:7], s[0:1], v[0:1], -v[12:13]
	v_fmac_f64_e32 v[2:3], s[2:3], v[0:1]
	s_delay_alu instid0(VALU_DEP_2) | instskip(NEXT) | instid1(VALU_DEP_2)
	v_add_f64_e32 v[0:1], v[10:11], v[6:7]
	v_add_f64_e32 v[2:3], v[4:5], v[2:3]
	flat_store_b128 v[8:9], v[0:3]
.LBB39_6:
	s_endpgm
	.section	.rodata,"a",@progbits
	.p2align	6, 0x0
	.amdhsa_kernel _ZN9rocsolver6v33100L11gemm_kernelI19rocblas_complex_numIdElPKS3_PKPS3_S8_S8_EEvT0_S9_S9_T1_bT2_lS9_S9_lbT3_lS9_S9_lSA_T4_lS9_S9_l
		.amdhsa_group_segment_fixed_size 0
		.amdhsa_private_segment_fixed_size 0
		.amdhsa_kernarg_size 432
		.amdhsa_user_sgpr_count 2
		.amdhsa_user_sgpr_dispatch_ptr 0
		.amdhsa_user_sgpr_queue_ptr 0
		.amdhsa_user_sgpr_kernarg_segment_ptr 1
		.amdhsa_user_sgpr_dispatch_id 0
		.amdhsa_user_sgpr_kernarg_preload_length 0
		.amdhsa_user_sgpr_kernarg_preload_offset 0
		.amdhsa_user_sgpr_private_segment_size 0
		.amdhsa_wavefront_size32 1
		.amdhsa_uses_dynamic_stack 0
		.amdhsa_enable_private_segment 0
		.amdhsa_system_sgpr_workgroup_id_x 1
		.amdhsa_system_sgpr_workgroup_id_y 1
		.amdhsa_system_sgpr_workgroup_id_z 1
		.amdhsa_system_sgpr_workgroup_info 0
		.amdhsa_system_vgpr_workitem_id 1
		.amdhsa_next_free_vgpr 22
		.amdhsa_next_free_sgpr 44
		.amdhsa_named_barrier_count 0
		.amdhsa_reserve_vcc 1
		.amdhsa_float_round_mode_32 0
		.amdhsa_float_round_mode_16_64 0
		.amdhsa_float_denorm_mode_32 3
		.amdhsa_float_denorm_mode_16_64 3
		.amdhsa_fp16_overflow 0
		.amdhsa_memory_ordered 1
		.amdhsa_forward_progress 1
		.amdhsa_inst_pref_size 6
		.amdhsa_round_robin_scheduling 0
		.amdhsa_exception_fp_ieee_invalid_op 0
		.amdhsa_exception_fp_denorm_src 0
		.amdhsa_exception_fp_ieee_div_zero 0
		.amdhsa_exception_fp_ieee_overflow 0
		.amdhsa_exception_fp_ieee_underflow 0
		.amdhsa_exception_fp_ieee_inexact 0
		.amdhsa_exception_int_div_zero 0
	.end_amdhsa_kernel
	.section	.text._ZN9rocsolver6v33100L11gemm_kernelI19rocblas_complex_numIdElPKS3_PKPS3_S8_S8_EEvT0_S9_S9_T1_bT2_lS9_S9_lbT3_lS9_S9_lSA_T4_lS9_S9_l,"axG",@progbits,_ZN9rocsolver6v33100L11gemm_kernelI19rocblas_complex_numIdElPKS3_PKPS3_S8_S8_EEvT0_S9_S9_T1_bT2_lS9_S9_lbT3_lS9_S9_lSA_T4_lS9_S9_l,comdat
.Lfunc_end39:
	.size	_ZN9rocsolver6v33100L11gemm_kernelI19rocblas_complex_numIdElPKS3_PKPS3_S8_S8_EEvT0_S9_S9_T1_bT2_lS9_S9_lbT3_lS9_S9_lSA_T4_lS9_S9_l, .Lfunc_end39-_ZN9rocsolver6v33100L11gemm_kernelI19rocblas_complex_numIdElPKS3_PKPS3_S8_S8_EEvT0_S9_S9_T1_bT2_lS9_S9_lbT3_lS9_S9_lSA_T4_lS9_S9_l
                                        ; -- End function
	.set _ZN9rocsolver6v33100L11gemm_kernelI19rocblas_complex_numIdElPKS3_PKPS3_S8_S8_EEvT0_S9_S9_T1_bT2_lS9_S9_lbT3_lS9_S9_lSA_T4_lS9_S9_l.num_vgpr, 22
	.set _ZN9rocsolver6v33100L11gemm_kernelI19rocblas_complex_numIdElPKS3_PKPS3_S8_S8_EEvT0_S9_S9_T1_bT2_lS9_S9_lbT3_lS9_S9_lSA_T4_lS9_S9_l.num_agpr, 0
	.set _ZN9rocsolver6v33100L11gemm_kernelI19rocblas_complex_numIdElPKS3_PKPS3_S8_S8_EEvT0_S9_S9_T1_bT2_lS9_S9_lbT3_lS9_S9_lSA_T4_lS9_S9_l.numbered_sgpr, 44
	.set _ZN9rocsolver6v33100L11gemm_kernelI19rocblas_complex_numIdElPKS3_PKPS3_S8_S8_EEvT0_S9_S9_T1_bT2_lS9_S9_lbT3_lS9_S9_lSA_T4_lS9_S9_l.num_named_barrier, 0
	.set _ZN9rocsolver6v33100L11gemm_kernelI19rocblas_complex_numIdElPKS3_PKPS3_S8_S8_EEvT0_S9_S9_T1_bT2_lS9_S9_lbT3_lS9_S9_lSA_T4_lS9_S9_l.private_seg_size, 0
	.set _ZN9rocsolver6v33100L11gemm_kernelI19rocblas_complex_numIdElPKS3_PKPS3_S8_S8_EEvT0_S9_S9_T1_bT2_lS9_S9_lbT3_lS9_S9_lSA_T4_lS9_S9_l.uses_vcc, 1
	.set _ZN9rocsolver6v33100L11gemm_kernelI19rocblas_complex_numIdElPKS3_PKPS3_S8_S8_EEvT0_S9_S9_T1_bT2_lS9_S9_lbT3_lS9_S9_lSA_T4_lS9_S9_l.uses_flat_scratch, 0
	.set _ZN9rocsolver6v33100L11gemm_kernelI19rocblas_complex_numIdElPKS3_PKPS3_S8_S8_EEvT0_S9_S9_T1_bT2_lS9_S9_lbT3_lS9_S9_lSA_T4_lS9_S9_l.has_dyn_sized_stack, 0
	.set _ZN9rocsolver6v33100L11gemm_kernelI19rocblas_complex_numIdElPKS3_PKPS3_S8_S8_EEvT0_S9_S9_T1_bT2_lS9_S9_lbT3_lS9_S9_lSA_T4_lS9_S9_l.has_recursion, 0
	.set _ZN9rocsolver6v33100L11gemm_kernelI19rocblas_complex_numIdElPKS3_PKPS3_S8_S8_EEvT0_S9_S9_T1_bT2_lS9_S9_lbT3_lS9_S9_lSA_T4_lS9_S9_l.has_indirect_call, 0
	.section	.AMDGPU.csdata,"",@progbits
; Kernel info:
; codeLenInByte = 724
; TotalNumSgprs: 46
; NumVgprs: 22
; ScratchSize: 0
; MemoryBound: 0
; FloatMode: 240
; IeeeMode: 1
; LDSByteSize: 0 bytes/workgroup (compile time only)
; SGPRBlocks: 0
; VGPRBlocks: 1
; NumSGPRsForWavesPerEU: 46
; NumVGPRsForWavesPerEU: 22
; NamedBarCnt: 0
; Occupancy: 16
; WaveLimiterHint : 1
; COMPUTE_PGM_RSRC2:SCRATCH_EN: 0
; COMPUTE_PGM_RSRC2:USER_SGPR: 2
; COMPUTE_PGM_RSRC2:TRAP_HANDLER: 0
; COMPUTE_PGM_RSRC2:TGID_X_EN: 1
; COMPUTE_PGM_RSRC2:TGID_Y_EN: 1
; COMPUTE_PGM_RSRC2:TGID_Z_EN: 1
; COMPUTE_PGM_RSRC2:TIDIG_COMP_CNT: 1
	.section	.text._ZN9rocsolver6v33100L11gemm_kernelI19rocblas_complex_numIdElS3_PKPS3_S6_S6_EEvT0_S7_S7_T1_bT2_lS7_S7_lbT3_lS7_S7_lS8_T4_lS7_S7_l,"axG",@progbits,_ZN9rocsolver6v33100L11gemm_kernelI19rocblas_complex_numIdElS3_PKPS3_S6_S6_EEvT0_S7_S7_T1_bT2_lS7_S7_lbT3_lS7_S7_lS8_T4_lS7_S7_l,comdat
	.globl	_ZN9rocsolver6v33100L11gemm_kernelI19rocblas_complex_numIdElS3_PKPS3_S6_S6_EEvT0_S7_S7_T1_bT2_lS7_S7_lbT3_lS7_S7_lS8_T4_lS7_S7_l ; -- Begin function _ZN9rocsolver6v33100L11gemm_kernelI19rocblas_complex_numIdElS3_PKPS3_S6_S6_EEvT0_S7_S7_T1_bT2_lS7_S7_lbT3_lS7_S7_lS8_T4_lS7_S7_l
	.p2align	8
	.type	_ZN9rocsolver6v33100L11gemm_kernelI19rocblas_complex_numIdElS3_PKPS3_S6_S6_EEvT0_S7_S7_T1_bT2_lS7_S7_lbT3_lS7_S7_lS8_T4_lS7_S7_l,@function
_ZN9rocsolver6v33100L11gemm_kernelI19rocblas_complex_numIdElS3_PKPS3_S6_S6_EEvT0_S7_S7_T1_bT2_lS7_S7_lbT3_lS7_S7_lS8_T4_lS7_S7_l: ; @_ZN9rocsolver6v33100L11gemm_kernelI19rocblas_complex_numIdElS3_PKPS3_S6_S6_EEvT0_S7_S7_T1_bT2_lS7_S7_lbT3_lS7_S7_lS8_T4_lS7_S7_l
; %bb.0:
	s_load_b32 s2, s[0:1], 0xcc
	s_bfe_u32 s12, ttmp6, 0x40010
	s_bfe_u32 s15, ttmp6, 0x4000c
	s_and_b32 s3, ttmp7, 0xffff
	s_add_co_i32 s12, s12, 1
	s_add_co_i32 s15, s15, 1
	s_bfe_u32 s13, ttmp6, 0x40004
	s_and_b32 s14, ttmp6, 15
	s_mul_i32 s12, s3, s12
	s_mul_i32 s15, ttmp9, s15
	s_getreg_b32 s20, hwreg(HW_REG_IB_STS2, 6, 4)
	v_mov_b32_e32 v5, 0
	v_and_b32_e32 v4, 0x3ff, v0
	s_add_co_i32 s13, s13, s12
	s_add_co_i32 s14, s14, s15
	s_load_b256 s[4:11], s[0:1], 0x0
	s_wait_kmcnt 0x0
	s_lshr_b32 s12, s2, 16
	s_and_b32 s2, s2, 0xffff
	s_cmp_eq_u32 s20, 0
	s_cselect_b32 s14, ttmp9, s14
	s_delay_alu instid0(SALU_CYCLE_1)
	v_mad_nc_u64_u32 v[2:3], s2, s14, v[4:5]
	v_bfe_u32 v4, v0, 10, 10
	s_cselect_b32 s2, s3, s13
	s_delay_alu instid0(VALU_DEP_1) | instid1(SALU_CYCLE_1)
	v_mad_nc_u64_u32 v[0:1], s12, s2, v[4:5]
	s_delay_alu instid0(VALU_DEP_3) | instskip(NEXT) | instid1(VALU_DEP_2)
	v_cmp_gt_i64_e32 vcc_lo, s[4:5], v[2:3]
	v_cmp_gt_i64_e64 s2, s[6:7], v[0:1]
	s_and_b32 s2, vcc_lo, s2
	s_delay_alu instid0(SALU_CYCLE_1)
	s_and_saveexec_b32 s3, s2
	s_cbranch_execz .LBB40_6
; %bb.1:
	s_clause 0x2
	s_load_b64 s[2:3], s[0:1], 0x20
	s_load_b256 s[12:19], s[0:1], 0x88
	s_load_b128 s[4:7], s[0:1], 0xa8
	s_bfe_u32 s21, ttmp6, 0x40014
	s_lshr_b32 s22, ttmp7, 16
	s_add_co_i32 s21, s21, 1
	v_cmp_lt_i64_e64 s23, s[8:9], 1
	s_mul_i32 s21, s22, s21
	s_bfe_u32 s24, ttmp6, 0x40008
	s_delay_alu instid0(SALU_CYCLE_1)
	s_add_co_i32 s24, s24, s21
	s_cmp_eq_u32 s20, 0
	s_cselect_b32 s28, s22, s24
	s_and_b32 vcc_lo, exec_lo, s23
	s_cbranch_vccnz .LBB40_4
; %bb.2:
	s_clause 0x1
	s_load_b256 s[20:27], s[0:1], 0x30
	s_load_b256 s[36:43], s[0:1], 0x60
	s_wait_kmcnt 0x0
	v_mul_u64_e32 v[4:5], s[24:25], v[2:3]
	v_mul_u64_e32 v[6:7], s[42:43], v[0:1]
	s_clause 0x1
	s_load_b32 s29, s[0:1], 0x28
	s_load_b32 s33, s[0:1], 0x58
	s_load_b64 s[24:25], s[20:21], s28 offset:0x0 scale_offset
	s_load_b64 s[30:31], s[36:37], s28 offset:0x0 scale_offset
	s_wait_kmcnt 0x0
	s_bitcmp1_b32 s29, 0
	s_cselect_b32 vcc_lo, -1, 0
	s_bitcmp1_b32 s33, 0
	s_cselect_b32 s0, -1, 0
	s_lshl_b64 s[20:21], s[22:23], 4
	s_lshl_b64 s[22:23], s[38:39], 4
	s_add_nc_u64 s[20:21], s[24:25], s[20:21]
	s_add_nc_u64 s[22:23], s[30:31], s[22:23]
	s_delay_alu instid0(VALU_DEP_2) | instskip(NEXT) | instid1(VALU_DEP_2)
	v_lshl_add_u64 v[8:9], v[4:5], 4, s[20:21]
	v_lshl_add_u64 v[6:7], v[6:7], 4, s[22:23]
	v_mov_b64_e32 v[4:5], 0
	s_lshl_b64 s[20:21], s[26:27], 4
	s_lshl_b64 s[22:23], s[40:41], 4
	v_add_nc_u64_e32 v[8:9], 8, v[8:9]
	v_add_nc_u64_e32 v[10:11], 8, v[6:7]
	v_mov_b64_e32 v[6:7], 0
.LBB40_3:                               ; =>This Inner Loop Header: Depth=1
	flat_load_b128 v[12:15], v[8:9] offset:-8
	flat_load_b128 v[16:19], v[10:11] offset:-8
	s_wait_xcnt 0x1
	v_add_nc_u64_e32 v[8:9], s[20:21], v[8:9]
	s_wait_xcnt 0x0
	v_add_nc_u64_e32 v[10:11], s[22:23], v[10:11]
	s_add_nc_u64 s[8:9], s[8:9], -1
	s_delay_alu instid0(SALU_CYCLE_1) | instskip(SKIP_4) | instid1(VALU_DEP_2)
	s_cmp_eq_u64 s[8:9], 0
	s_wait_loadcnt_dscnt 0x101
	v_xor_b32_e32 v20, 0x80000000, v15
	s_wait_loadcnt_dscnt 0x0
	v_xor_b32_e32 v21, 0x80000000, v19
	v_cndmask_b32_e32 v15, v15, v20, vcc_lo
	s_delay_alu instid0(VALU_DEP_2) | instskip(NEXT) | instid1(VALU_DEP_1)
	v_cndmask_b32_e64 v19, v19, v21, s0
	v_mul_f64_e32 v[20:21], v[14:15], v[18:19]
	v_mul_f64_e32 v[14:15], v[14:15], v[16:17]
	s_delay_alu instid0(VALU_DEP_2) | instskip(NEXT) | instid1(VALU_DEP_2)
	v_fma_f64 v[16:17], v[12:13], v[16:17], -v[20:21]
	v_fmac_f64_e32 v[14:15], v[12:13], v[18:19]
	s_delay_alu instid0(VALU_DEP_2) | instskip(NEXT) | instid1(VALU_DEP_2)
	v_add_f64_e32 v[6:7], v[6:7], v[16:17]
	v_add_f64_e32 v[4:5], v[4:5], v[14:15]
	s_cbranch_scc0 .LBB40_3
	s_branch .LBB40_5
.LBB40_4:
	v_mov_b64_e32 v[4:5], 0
	v_mov_b64_e32 v[6:7], 0
.LBB40_5:
	s_wait_kmcnt 0x0
	v_mul_u64_e32 v[2:3], s[4:5], v[2:3]
	v_mul_u64_e32 v[0:1], s[6:7], v[0:1]
	s_load_b64 s[0:1], s[16:17], s28 offset:0x0 scale_offset
	s_lshl_b64 s[4:5], s[18:19], 4
	s_delay_alu instid0(VALU_DEP_3)
	v_mul_f64_e32 v[10:11], s[2:3], v[4:5]
	v_mul_f64_e32 v[4:5], s[10:11], v[4:5]
	s_wait_kmcnt 0x0
	s_add_nc_u64 s[0:1], s[0:1], s[4:5]
	s_delay_alu instid0(VALU_DEP_4) | instid1(SALU_CYCLE_1)
	v_lshl_add_u64 v[2:3], v[2:3], 4, s[0:1]
	s_delay_alu instid0(VALU_DEP_3) | instskip(NEXT) | instid1(VALU_DEP_2)
	v_fma_f64 v[10:11], s[10:11], v[6:7], -v[10:11]
	v_lshl_add_u64 v[8:9], v[0:1], 4, v[2:3]
	s_delay_alu instid0(VALU_DEP_4) | instskip(SKIP_4) | instid1(VALU_DEP_2)
	v_fmac_f64_e32 v[4:5], s[2:3], v[6:7]
	flat_load_b128 v[0:3], v[8:9]
	s_wait_loadcnt_dscnt 0x0
	v_mul_f64_e32 v[12:13], s[14:15], v[2:3]
	v_mul_f64_e32 v[2:3], s[12:13], v[2:3]
	v_fma_f64 v[6:7], s[12:13], v[0:1], -v[12:13]
	s_delay_alu instid0(VALU_DEP_2) | instskip(NEXT) | instid1(VALU_DEP_2)
	v_fmac_f64_e32 v[2:3], s[14:15], v[0:1]
	v_add_f64_e32 v[0:1], v[10:11], v[6:7]
	s_delay_alu instid0(VALU_DEP_2)
	v_add_f64_e32 v[2:3], v[4:5], v[2:3]
	flat_store_b128 v[8:9], v[0:3]
.LBB40_6:
	s_endpgm
	.section	.rodata,"a",@progbits
	.p2align	6, 0x0
	.amdhsa_kernel _ZN9rocsolver6v33100L11gemm_kernelI19rocblas_complex_numIdElS3_PKPS3_S6_S6_EEvT0_S7_S7_T1_bT2_lS7_S7_lbT3_lS7_S7_lS8_T4_lS7_S7_l
		.amdhsa_group_segment_fixed_size 0
		.amdhsa_private_segment_fixed_size 0
		.amdhsa_kernarg_size 448
		.amdhsa_user_sgpr_count 2
		.amdhsa_user_sgpr_dispatch_ptr 0
		.amdhsa_user_sgpr_queue_ptr 0
		.amdhsa_user_sgpr_kernarg_segment_ptr 1
		.amdhsa_user_sgpr_dispatch_id 0
		.amdhsa_user_sgpr_kernarg_preload_length 0
		.amdhsa_user_sgpr_kernarg_preload_offset 0
		.amdhsa_user_sgpr_private_segment_size 0
		.amdhsa_wavefront_size32 1
		.amdhsa_uses_dynamic_stack 0
		.amdhsa_enable_private_segment 0
		.amdhsa_system_sgpr_workgroup_id_x 1
		.amdhsa_system_sgpr_workgroup_id_y 1
		.amdhsa_system_sgpr_workgroup_id_z 1
		.amdhsa_system_sgpr_workgroup_info 0
		.amdhsa_system_vgpr_workitem_id 1
		.amdhsa_next_free_vgpr 22
		.amdhsa_next_free_sgpr 44
		.amdhsa_named_barrier_count 0
		.amdhsa_reserve_vcc 1
		.amdhsa_float_round_mode_32 0
		.amdhsa_float_round_mode_16_64 0
		.amdhsa_float_denorm_mode_32 3
		.amdhsa_float_denorm_mode_16_64 3
		.amdhsa_fp16_overflow 0
		.amdhsa_memory_ordered 1
		.amdhsa_forward_progress 1
		.amdhsa_inst_pref_size 6
		.amdhsa_round_robin_scheduling 0
		.amdhsa_exception_fp_ieee_invalid_op 0
		.amdhsa_exception_fp_denorm_src 0
		.amdhsa_exception_fp_ieee_div_zero 0
		.amdhsa_exception_fp_ieee_overflow 0
		.amdhsa_exception_fp_ieee_underflow 0
		.amdhsa_exception_fp_ieee_inexact 0
		.amdhsa_exception_int_div_zero 0
	.end_amdhsa_kernel
	.section	.text._ZN9rocsolver6v33100L11gemm_kernelI19rocblas_complex_numIdElS3_PKPS3_S6_S6_EEvT0_S7_S7_T1_bT2_lS7_S7_lbT3_lS7_S7_lS8_T4_lS7_S7_l,"axG",@progbits,_ZN9rocsolver6v33100L11gemm_kernelI19rocblas_complex_numIdElS3_PKPS3_S6_S6_EEvT0_S7_S7_T1_bT2_lS7_S7_lbT3_lS7_S7_lS8_T4_lS7_S7_l,comdat
.Lfunc_end40:
	.size	_ZN9rocsolver6v33100L11gemm_kernelI19rocblas_complex_numIdElS3_PKPS3_S6_S6_EEvT0_S7_S7_T1_bT2_lS7_S7_lbT3_lS7_S7_lS8_T4_lS7_S7_l, .Lfunc_end40-_ZN9rocsolver6v33100L11gemm_kernelI19rocblas_complex_numIdElS3_PKPS3_S6_S6_EEvT0_S7_S7_T1_bT2_lS7_S7_lbT3_lS7_S7_lS8_T4_lS7_S7_l
                                        ; -- End function
	.set _ZN9rocsolver6v33100L11gemm_kernelI19rocblas_complex_numIdElS3_PKPS3_S6_S6_EEvT0_S7_S7_T1_bT2_lS7_S7_lbT3_lS7_S7_lS8_T4_lS7_S7_l.num_vgpr, 22
	.set _ZN9rocsolver6v33100L11gemm_kernelI19rocblas_complex_numIdElS3_PKPS3_S6_S6_EEvT0_S7_S7_T1_bT2_lS7_S7_lbT3_lS7_S7_lS8_T4_lS7_S7_l.num_agpr, 0
	.set _ZN9rocsolver6v33100L11gemm_kernelI19rocblas_complex_numIdElS3_PKPS3_S6_S6_EEvT0_S7_S7_T1_bT2_lS7_S7_lbT3_lS7_S7_lS8_T4_lS7_S7_l.numbered_sgpr, 44
	.set _ZN9rocsolver6v33100L11gemm_kernelI19rocblas_complex_numIdElS3_PKPS3_S6_S6_EEvT0_S7_S7_T1_bT2_lS7_S7_lbT3_lS7_S7_lS8_T4_lS7_S7_l.num_named_barrier, 0
	.set _ZN9rocsolver6v33100L11gemm_kernelI19rocblas_complex_numIdElS3_PKPS3_S6_S6_EEvT0_S7_S7_T1_bT2_lS7_S7_lbT3_lS7_S7_lS8_T4_lS7_S7_l.private_seg_size, 0
	.set _ZN9rocsolver6v33100L11gemm_kernelI19rocblas_complex_numIdElS3_PKPS3_S6_S6_EEvT0_S7_S7_T1_bT2_lS7_S7_lbT3_lS7_S7_lS8_T4_lS7_S7_l.uses_vcc, 1
	.set _ZN9rocsolver6v33100L11gemm_kernelI19rocblas_complex_numIdElS3_PKPS3_S6_S6_EEvT0_S7_S7_T1_bT2_lS7_S7_lbT3_lS7_S7_lS8_T4_lS7_S7_l.uses_flat_scratch, 0
	.set _ZN9rocsolver6v33100L11gemm_kernelI19rocblas_complex_numIdElS3_PKPS3_S6_S6_EEvT0_S7_S7_T1_bT2_lS7_S7_lbT3_lS7_S7_lS8_T4_lS7_S7_l.has_dyn_sized_stack, 0
	.set _ZN9rocsolver6v33100L11gemm_kernelI19rocblas_complex_numIdElS3_PKPS3_S6_S6_EEvT0_S7_S7_T1_bT2_lS7_S7_lbT3_lS7_S7_lS8_T4_lS7_S7_l.has_recursion, 0
	.set _ZN9rocsolver6v33100L11gemm_kernelI19rocblas_complex_numIdElS3_PKPS3_S6_S6_EEvT0_S7_S7_T1_bT2_lS7_S7_lbT3_lS7_S7_lS8_T4_lS7_S7_l.has_indirect_call, 0
	.section	.AMDGPU.csdata,"",@progbits
; Kernel info:
; codeLenInByte = 716
; TotalNumSgprs: 46
; NumVgprs: 22
; ScratchSize: 0
; MemoryBound: 0
; FloatMode: 240
; IeeeMode: 1
; LDSByteSize: 0 bytes/workgroup (compile time only)
; SGPRBlocks: 0
; VGPRBlocks: 1
; NumSGPRsForWavesPerEU: 46
; NumVGPRsForWavesPerEU: 22
; NamedBarCnt: 0
; Occupancy: 16
; WaveLimiterHint : 1
; COMPUTE_PGM_RSRC2:SCRATCH_EN: 0
; COMPUTE_PGM_RSRC2:USER_SGPR: 2
; COMPUTE_PGM_RSRC2:TRAP_HANDLER: 0
; COMPUTE_PGM_RSRC2:TGID_X_EN: 1
; COMPUTE_PGM_RSRC2:TGID_Y_EN: 1
; COMPUTE_PGM_RSRC2:TGID_Z_EN: 1
; COMPUTE_PGM_RSRC2:TIDIG_COMP_CNT: 1
	.section	.text._ZN9rocsolver6v33100L9get_arrayI19rocblas_complex_numIdElEEvPPT_S5_lT0_,"axG",@progbits,_ZN9rocsolver6v33100L9get_arrayI19rocblas_complex_numIdElEEvPPT_S5_lT0_,comdat
	.globl	_ZN9rocsolver6v33100L9get_arrayI19rocblas_complex_numIdElEEvPPT_S5_lT0_ ; -- Begin function _ZN9rocsolver6v33100L9get_arrayI19rocblas_complex_numIdElEEvPPT_S5_lT0_
	.p2align	8
	.type	_ZN9rocsolver6v33100L9get_arrayI19rocblas_complex_numIdElEEvPPT_S5_lT0_,@function
_ZN9rocsolver6v33100L9get_arrayI19rocblas_complex_numIdElEEvPPT_S5_lT0_: ; @_ZN9rocsolver6v33100L9get_arrayI19rocblas_complex_numIdElEEvPPT_S5_lT0_
; %bb.0:
	s_load_b32 s2, s[0:1], 0x2c
	s_bfe_u32 s12, ttmp6, 0x4000c
	s_load_b256 s[4:11], s[0:1], 0x0
	s_add_co_i32 s12, s12, 1
	s_and_b32 s3, ttmp6, 15
	s_wait_xcnt 0x0
	s_mul_i32 s1, ttmp9, s12
	s_getreg_b32 s0, hwreg(HW_REG_IB_STS2, 6, 4)
	v_mov_b32_e32 v1, 0
	s_add_co_i32 s3, s3, s1
	s_wait_kmcnt 0x0
	s_and_b32 s2, s2, 0xffff
	s_cmp_eq_u32 s0, 0
	s_cselect_b32 s0, ttmp9, s3
	s_delay_alu instid0(SALU_CYCLE_1) | instskip(SKIP_1) | instid1(VALU_DEP_1)
	v_mad_nc_u64_u32 v[0:1], s2, s0, v[0:1]
	s_mov_b32 s0, exec_lo
	v_cmpx_gt_i64_e64 s[10:11], v[0:1]
	s_cbranch_execz .LBB41_2
; %bb.1:
	v_mul_u64_e32 v[2:3], s[8:9], v[0:1]
	v_lshl_add_u64 v[0:1], v[0:1], 3, s[4:5]
	s_delay_alu instid0(VALU_DEP_2)
	v_lshl_add_u64 v[2:3], v[2:3], 4, s[6:7]
	global_store_b64 v[0:1], v[2:3], off
.LBB41_2:
	s_endpgm
	.section	.rodata,"a",@progbits
	.p2align	6, 0x0
	.amdhsa_kernel _ZN9rocsolver6v33100L9get_arrayI19rocblas_complex_numIdElEEvPPT_S5_lT0_
		.amdhsa_group_segment_fixed_size 0
		.amdhsa_private_segment_fixed_size 0
		.amdhsa_kernarg_size 288
		.amdhsa_user_sgpr_count 2
		.amdhsa_user_sgpr_dispatch_ptr 0
		.amdhsa_user_sgpr_queue_ptr 0
		.amdhsa_user_sgpr_kernarg_segment_ptr 1
		.amdhsa_user_sgpr_dispatch_id 0
		.amdhsa_user_sgpr_kernarg_preload_length 0
		.amdhsa_user_sgpr_kernarg_preload_offset 0
		.amdhsa_user_sgpr_private_segment_size 0
		.amdhsa_wavefront_size32 1
		.amdhsa_uses_dynamic_stack 0
		.amdhsa_enable_private_segment 0
		.amdhsa_system_sgpr_workgroup_id_x 1
		.amdhsa_system_sgpr_workgroup_id_y 0
		.amdhsa_system_sgpr_workgroup_id_z 0
		.amdhsa_system_sgpr_workgroup_info 0
		.amdhsa_system_vgpr_workitem_id 0
		.amdhsa_next_free_vgpr 4
		.amdhsa_next_free_sgpr 13
		.amdhsa_named_barrier_count 0
		.amdhsa_reserve_vcc 0
		.amdhsa_float_round_mode_32 0
		.amdhsa_float_round_mode_16_64 0
		.amdhsa_float_denorm_mode_32 3
		.amdhsa_float_denorm_mode_16_64 3
		.amdhsa_fp16_overflow 0
		.amdhsa_memory_ordered 1
		.amdhsa_forward_progress 1
		.amdhsa_inst_pref_size 2
		.amdhsa_round_robin_scheduling 0
		.amdhsa_exception_fp_ieee_invalid_op 0
		.amdhsa_exception_fp_denorm_src 0
		.amdhsa_exception_fp_ieee_div_zero 0
		.amdhsa_exception_fp_ieee_overflow 0
		.amdhsa_exception_fp_ieee_underflow 0
		.amdhsa_exception_fp_ieee_inexact 0
		.amdhsa_exception_int_div_zero 0
	.end_amdhsa_kernel
	.section	.text._ZN9rocsolver6v33100L9get_arrayI19rocblas_complex_numIdElEEvPPT_S5_lT0_,"axG",@progbits,_ZN9rocsolver6v33100L9get_arrayI19rocblas_complex_numIdElEEvPPT_S5_lT0_,comdat
.Lfunc_end41:
	.size	_ZN9rocsolver6v33100L9get_arrayI19rocblas_complex_numIdElEEvPPT_S5_lT0_, .Lfunc_end41-_ZN9rocsolver6v33100L9get_arrayI19rocblas_complex_numIdElEEvPPT_S5_lT0_
                                        ; -- End function
	.set _ZN9rocsolver6v33100L9get_arrayI19rocblas_complex_numIdElEEvPPT_S5_lT0_.num_vgpr, 4
	.set _ZN9rocsolver6v33100L9get_arrayI19rocblas_complex_numIdElEEvPPT_S5_lT0_.num_agpr, 0
	.set _ZN9rocsolver6v33100L9get_arrayI19rocblas_complex_numIdElEEvPPT_S5_lT0_.numbered_sgpr, 13
	.set _ZN9rocsolver6v33100L9get_arrayI19rocblas_complex_numIdElEEvPPT_S5_lT0_.num_named_barrier, 0
	.set _ZN9rocsolver6v33100L9get_arrayI19rocblas_complex_numIdElEEvPPT_S5_lT0_.private_seg_size, 0
	.set _ZN9rocsolver6v33100L9get_arrayI19rocblas_complex_numIdElEEvPPT_S5_lT0_.uses_vcc, 0
	.set _ZN9rocsolver6v33100L9get_arrayI19rocblas_complex_numIdElEEvPPT_S5_lT0_.uses_flat_scratch, 0
	.set _ZN9rocsolver6v33100L9get_arrayI19rocblas_complex_numIdElEEvPPT_S5_lT0_.has_dyn_sized_stack, 0
	.set _ZN9rocsolver6v33100L9get_arrayI19rocblas_complex_numIdElEEvPPT_S5_lT0_.has_recursion, 0
	.set _ZN9rocsolver6v33100L9get_arrayI19rocblas_complex_numIdElEEvPPT_S5_lT0_.has_indirect_call, 0
	.section	.AMDGPU.csdata,"",@progbits
; Kernel info:
; codeLenInByte = 140
; TotalNumSgprs: 13
; NumVgprs: 4
; ScratchSize: 0
; MemoryBound: 0
; FloatMode: 240
; IeeeMode: 1
; LDSByteSize: 0 bytes/workgroup (compile time only)
; SGPRBlocks: 0
; VGPRBlocks: 0
; NumSGPRsForWavesPerEU: 13
; NumVGPRsForWavesPerEU: 4
; NamedBarCnt: 0
; Occupancy: 16
; WaveLimiterHint : 0
; COMPUTE_PGM_RSRC2:SCRATCH_EN: 0
; COMPUTE_PGM_RSRC2:USER_SGPR: 2
; COMPUTE_PGM_RSRC2:TRAP_HANDLER: 0
; COMPUTE_PGM_RSRC2:TGID_X_EN: 1
; COMPUTE_PGM_RSRC2:TGID_Y_EN: 0
; COMPUTE_PGM_RSRC2:TGID_Z_EN: 0
; COMPUTE_PGM_RSRC2:TIDIG_COMP_CNT: 0
	.section	.text._ZN9rocsolver6v33100L16mfma_gemm_kernelI19rocblas_complex_numIdElPKS3_PS3_PKS6_S8_EEv18rocblas_operation_S9_T0_SA_SA_T1_T2_lSA_SA_lT3_lSA_SA_lSB_T4_lSA_SA_l,"axG",@progbits,_ZN9rocsolver6v33100L16mfma_gemm_kernelI19rocblas_complex_numIdElPKS3_PS3_PKS6_S8_EEv18rocblas_operation_S9_T0_SA_SA_T1_T2_lSA_SA_lT3_lSA_SA_lSB_T4_lSA_SA_l,comdat
	.globl	_ZN9rocsolver6v33100L16mfma_gemm_kernelI19rocblas_complex_numIdElPKS3_PS3_PKS6_S8_EEv18rocblas_operation_S9_T0_SA_SA_T1_T2_lSA_SA_lT3_lSA_SA_lSB_T4_lSA_SA_l ; -- Begin function _ZN9rocsolver6v33100L16mfma_gemm_kernelI19rocblas_complex_numIdElPKS3_PS3_PKS6_S8_EEv18rocblas_operation_S9_T0_SA_SA_T1_T2_lSA_SA_lT3_lSA_SA_lSB_T4_lSA_SA_l
	.p2align	8
	.type	_ZN9rocsolver6v33100L16mfma_gemm_kernelI19rocblas_complex_numIdElPKS3_PS3_PKS6_S8_EEv18rocblas_operation_S9_T0_SA_SA_T1_T2_lSA_SA_lT3_lSA_SA_lSB_T4_lSA_SA_l,@function
_ZN9rocsolver6v33100L16mfma_gemm_kernelI19rocblas_complex_numIdElPKS3_PS3_PKS6_S8_EEv18rocblas_operation_S9_T0_SA_SA_T1_T2_lSA_SA_lT3_lSA_SA_lSB_T4_lSA_SA_l: ; @_ZN9rocsolver6v33100L16mfma_gemm_kernelI19rocblas_complex_numIdElPKS3_PS3_PKS6_S8_EEv18rocblas_operation_S9_T0_SA_SA_T1_T2_lSA_SA_lT3_lSA_SA_lSB_T4_lSA_SA_l
; %bb.0:
	s_endpgm
	.section	.rodata,"a",@progbits
	.p2align	6, 0x0
	.amdhsa_kernel _ZN9rocsolver6v33100L16mfma_gemm_kernelI19rocblas_complex_numIdElPKS3_PS3_PKS6_S8_EEv18rocblas_operation_S9_T0_SA_SA_T1_T2_lSA_SA_lT3_lSA_SA_lSB_T4_lSA_SA_l
		.amdhsa_group_segment_fixed_size 0
		.amdhsa_private_segment_fixed_size 0
		.amdhsa_kernarg_size 168
		.amdhsa_user_sgpr_count 2
		.amdhsa_user_sgpr_dispatch_ptr 0
		.amdhsa_user_sgpr_queue_ptr 0
		.amdhsa_user_sgpr_kernarg_segment_ptr 1
		.amdhsa_user_sgpr_dispatch_id 0
		.amdhsa_user_sgpr_kernarg_preload_length 0
		.amdhsa_user_sgpr_kernarg_preload_offset 0
		.amdhsa_user_sgpr_private_segment_size 0
		.amdhsa_wavefront_size32 1
		.amdhsa_uses_dynamic_stack 0
		.amdhsa_enable_private_segment 0
		.amdhsa_system_sgpr_workgroup_id_x 1
		.amdhsa_system_sgpr_workgroup_id_y 0
		.amdhsa_system_sgpr_workgroup_id_z 0
		.amdhsa_system_sgpr_workgroup_info 0
		.amdhsa_system_vgpr_workitem_id 0
		.amdhsa_next_free_vgpr 1
		.amdhsa_next_free_sgpr 1
		.amdhsa_named_barrier_count 0
		.amdhsa_reserve_vcc 0
		.amdhsa_float_round_mode_32 0
		.amdhsa_float_round_mode_16_64 0
		.amdhsa_float_denorm_mode_32 3
		.amdhsa_float_denorm_mode_16_64 3
		.amdhsa_fp16_overflow 0
		.amdhsa_memory_ordered 1
		.amdhsa_forward_progress 1
		.amdhsa_inst_pref_size 1
		.amdhsa_round_robin_scheduling 0
		.amdhsa_exception_fp_ieee_invalid_op 0
		.amdhsa_exception_fp_denorm_src 0
		.amdhsa_exception_fp_ieee_div_zero 0
		.amdhsa_exception_fp_ieee_overflow 0
		.amdhsa_exception_fp_ieee_underflow 0
		.amdhsa_exception_fp_ieee_inexact 0
		.amdhsa_exception_int_div_zero 0
	.end_amdhsa_kernel
	.section	.text._ZN9rocsolver6v33100L16mfma_gemm_kernelI19rocblas_complex_numIdElPKS3_PS3_PKS6_S8_EEv18rocblas_operation_S9_T0_SA_SA_T1_T2_lSA_SA_lT3_lSA_SA_lSB_T4_lSA_SA_l,"axG",@progbits,_ZN9rocsolver6v33100L16mfma_gemm_kernelI19rocblas_complex_numIdElPKS3_PS3_PKS6_S8_EEv18rocblas_operation_S9_T0_SA_SA_T1_T2_lSA_SA_lT3_lSA_SA_lSB_T4_lSA_SA_l,comdat
.Lfunc_end42:
	.size	_ZN9rocsolver6v33100L16mfma_gemm_kernelI19rocblas_complex_numIdElPKS3_PS3_PKS6_S8_EEv18rocblas_operation_S9_T0_SA_SA_T1_T2_lSA_SA_lT3_lSA_SA_lSB_T4_lSA_SA_l, .Lfunc_end42-_ZN9rocsolver6v33100L16mfma_gemm_kernelI19rocblas_complex_numIdElPKS3_PS3_PKS6_S8_EEv18rocblas_operation_S9_T0_SA_SA_T1_T2_lSA_SA_lT3_lSA_SA_lSB_T4_lSA_SA_l
                                        ; -- End function
	.set _ZN9rocsolver6v33100L16mfma_gemm_kernelI19rocblas_complex_numIdElPKS3_PS3_PKS6_S8_EEv18rocblas_operation_S9_T0_SA_SA_T1_T2_lSA_SA_lT3_lSA_SA_lSB_T4_lSA_SA_l.num_vgpr, 0
	.set _ZN9rocsolver6v33100L16mfma_gemm_kernelI19rocblas_complex_numIdElPKS3_PS3_PKS6_S8_EEv18rocblas_operation_S9_T0_SA_SA_T1_T2_lSA_SA_lT3_lSA_SA_lSB_T4_lSA_SA_l.num_agpr, 0
	.set _ZN9rocsolver6v33100L16mfma_gemm_kernelI19rocblas_complex_numIdElPKS3_PS3_PKS6_S8_EEv18rocblas_operation_S9_T0_SA_SA_T1_T2_lSA_SA_lT3_lSA_SA_lSB_T4_lSA_SA_l.numbered_sgpr, 0
	.set _ZN9rocsolver6v33100L16mfma_gemm_kernelI19rocblas_complex_numIdElPKS3_PS3_PKS6_S8_EEv18rocblas_operation_S9_T0_SA_SA_T1_T2_lSA_SA_lT3_lSA_SA_lSB_T4_lSA_SA_l.num_named_barrier, 0
	.set _ZN9rocsolver6v33100L16mfma_gemm_kernelI19rocblas_complex_numIdElPKS3_PS3_PKS6_S8_EEv18rocblas_operation_S9_T0_SA_SA_T1_T2_lSA_SA_lT3_lSA_SA_lSB_T4_lSA_SA_l.private_seg_size, 0
	.set _ZN9rocsolver6v33100L16mfma_gemm_kernelI19rocblas_complex_numIdElPKS3_PS3_PKS6_S8_EEv18rocblas_operation_S9_T0_SA_SA_T1_T2_lSA_SA_lT3_lSA_SA_lSB_T4_lSA_SA_l.uses_vcc, 0
	.set _ZN9rocsolver6v33100L16mfma_gemm_kernelI19rocblas_complex_numIdElPKS3_PS3_PKS6_S8_EEv18rocblas_operation_S9_T0_SA_SA_T1_T2_lSA_SA_lT3_lSA_SA_lSB_T4_lSA_SA_l.uses_flat_scratch, 0
	.set _ZN9rocsolver6v33100L16mfma_gemm_kernelI19rocblas_complex_numIdElPKS3_PS3_PKS6_S8_EEv18rocblas_operation_S9_T0_SA_SA_T1_T2_lSA_SA_lT3_lSA_SA_lSB_T4_lSA_SA_l.has_dyn_sized_stack, 0
	.set _ZN9rocsolver6v33100L16mfma_gemm_kernelI19rocblas_complex_numIdElPKS3_PS3_PKS6_S8_EEv18rocblas_operation_S9_T0_SA_SA_T1_T2_lSA_SA_lT3_lSA_SA_lSB_T4_lSA_SA_l.has_recursion, 0
	.set _ZN9rocsolver6v33100L16mfma_gemm_kernelI19rocblas_complex_numIdElPKS3_PS3_PKS6_S8_EEv18rocblas_operation_S9_T0_SA_SA_T1_T2_lSA_SA_lT3_lSA_SA_lSB_T4_lSA_SA_l.has_indirect_call, 0
	.section	.AMDGPU.csdata,"",@progbits
; Kernel info:
; codeLenInByte = 4
; TotalNumSgprs: 0
; NumVgprs: 0
; ScratchSize: 0
; MemoryBound: 0
; FloatMode: 240
; IeeeMode: 1
; LDSByteSize: 0 bytes/workgroup (compile time only)
; SGPRBlocks: 0
; VGPRBlocks: 0
; NumSGPRsForWavesPerEU: 1
; NumVGPRsForWavesPerEU: 1
; NamedBarCnt: 0
; Occupancy: 16
; WaveLimiterHint : 0
; COMPUTE_PGM_RSRC2:SCRATCH_EN: 0
; COMPUTE_PGM_RSRC2:USER_SGPR: 2
; COMPUTE_PGM_RSRC2:TRAP_HANDLER: 0
; COMPUTE_PGM_RSRC2:TGID_X_EN: 1
; COMPUTE_PGM_RSRC2:TGID_Y_EN: 0
; COMPUTE_PGM_RSRC2:TGID_Z_EN: 0
; COMPUTE_PGM_RSRC2:TIDIG_COMP_CNT: 0
	.section	.text._ZN9rocsolver6v33100L16mfma_gemm_kernelI19rocblas_complex_numIdElS3_PS3_PKS4_S6_EEv18rocblas_operation_S7_T0_S8_S8_T1_T2_lS8_S8_lT3_lS8_S8_lS9_T4_lS8_S8_l,"axG",@progbits,_ZN9rocsolver6v33100L16mfma_gemm_kernelI19rocblas_complex_numIdElS3_PS3_PKS4_S6_EEv18rocblas_operation_S7_T0_S8_S8_T1_T2_lS8_S8_lT3_lS8_S8_lS9_T4_lS8_S8_l,comdat
	.globl	_ZN9rocsolver6v33100L16mfma_gemm_kernelI19rocblas_complex_numIdElS3_PS3_PKS4_S6_EEv18rocblas_operation_S7_T0_S8_S8_T1_T2_lS8_S8_lT3_lS8_S8_lS9_T4_lS8_S8_l ; -- Begin function _ZN9rocsolver6v33100L16mfma_gemm_kernelI19rocblas_complex_numIdElS3_PS3_PKS4_S6_EEv18rocblas_operation_S7_T0_S8_S8_T1_T2_lS8_S8_lT3_lS8_S8_lS9_T4_lS8_S8_l
	.p2align	8
	.type	_ZN9rocsolver6v33100L16mfma_gemm_kernelI19rocblas_complex_numIdElS3_PS3_PKS4_S6_EEv18rocblas_operation_S7_T0_S8_S8_T1_T2_lS8_S8_lT3_lS8_S8_lS9_T4_lS8_S8_l,@function
_ZN9rocsolver6v33100L16mfma_gemm_kernelI19rocblas_complex_numIdElS3_PS3_PKS4_S6_EEv18rocblas_operation_S7_T0_S8_S8_T1_T2_lS8_S8_lT3_lS8_S8_lS9_T4_lS8_S8_l: ; @_ZN9rocsolver6v33100L16mfma_gemm_kernelI19rocblas_complex_numIdElS3_PS3_PKS4_S6_EEv18rocblas_operation_S7_T0_S8_S8_T1_T2_lS8_S8_lT3_lS8_S8_lS9_T4_lS8_S8_l
; %bb.0:
	s_endpgm
	.section	.rodata,"a",@progbits
	.p2align	6, 0x0
	.amdhsa_kernel _ZN9rocsolver6v33100L16mfma_gemm_kernelI19rocblas_complex_numIdElS3_PS3_PKS4_S6_EEv18rocblas_operation_S7_T0_S8_S8_T1_T2_lS8_S8_lT3_lS8_S8_lS9_T4_lS8_S8_l
		.amdhsa_group_segment_fixed_size 0
		.amdhsa_private_segment_fixed_size 0
		.amdhsa_kernarg_size 184
		.amdhsa_user_sgpr_count 2
		.amdhsa_user_sgpr_dispatch_ptr 0
		.amdhsa_user_sgpr_queue_ptr 0
		.amdhsa_user_sgpr_kernarg_segment_ptr 1
		.amdhsa_user_sgpr_dispatch_id 0
		.amdhsa_user_sgpr_kernarg_preload_length 0
		.amdhsa_user_sgpr_kernarg_preload_offset 0
		.amdhsa_user_sgpr_private_segment_size 0
		.amdhsa_wavefront_size32 1
		.amdhsa_uses_dynamic_stack 0
		.amdhsa_enable_private_segment 0
		.amdhsa_system_sgpr_workgroup_id_x 1
		.amdhsa_system_sgpr_workgroup_id_y 0
		.amdhsa_system_sgpr_workgroup_id_z 0
		.amdhsa_system_sgpr_workgroup_info 0
		.amdhsa_system_vgpr_workitem_id 0
		.amdhsa_next_free_vgpr 1
		.amdhsa_next_free_sgpr 1
		.amdhsa_named_barrier_count 0
		.amdhsa_reserve_vcc 0
		.amdhsa_float_round_mode_32 0
		.amdhsa_float_round_mode_16_64 0
		.amdhsa_float_denorm_mode_32 3
		.amdhsa_float_denorm_mode_16_64 3
		.amdhsa_fp16_overflow 0
		.amdhsa_memory_ordered 1
		.amdhsa_forward_progress 1
		.amdhsa_inst_pref_size 1
		.amdhsa_round_robin_scheduling 0
		.amdhsa_exception_fp_ieee_invalid_op 0
		.amdhsa_exception_fp_denorm_src 0
		.amdhsa_exception_fp_ieee_div_zero 0
		.amdhsa_exception_fp_ieee_overflow 0
		.amdhsa_exception_fp_ieee_underflow 0
		.amdhsa_exception_fp_ieee_inexact 0
		.amdhsa_exception_int_div_zero 0
	.end_amdhsa_kernel
	.section	.text._ZN9rocsolver6v33100L16mfma_gemm_kernelI19rocblas_complex_numIdElS3_PS3_PKS4_S6_EEv18rocblas_operation_S7_T0_S8_S8_T1_T2_lS8_S8_lT3_lS8_S8_lS9_T4_lS8_S8_l,"axG",@progbits,_ZN9rocsolver6v33100L16mfma_gemm_kernelI19rocblas_complex_numIdElS3_PS3_PKS4_S6_EEv18rocblas_operation_S7_T0_S8_S8_T1_T2_lS8_S8_lT3_lS8_S8_lS9_T4_lS8_S8_l,comdat
.Lfunc_end43:
	.size	_ZN9rocsolver6v33100L16mfma_gemm_kernelI19rocblas_complex_numIdElS3_PS3_PKS4_S6_EEv18rocblas_operation_S7_T0_S8_S8_T1_T2_lS8_S8_lT3_lS8_S8_lS9_T4_lS8_S8_l, .Lfunc_end43-_ZN9rocsolver6v33100L16mfma_gemm_kernelI19rocblas_complex_numIdElS3_PS3_PKS4_S6_EEv18rocblas_operation_S7_T0_S8_S8_T1_T2_lS8_S8_lT3_lS8_S8_lS9_T4_lS8_S8_l
                                        ; -- End function
	.set _ZN9rocsolver6v33100L16mfma_gemm_kernelI19rocblas_complex_numIdElS3_PS3_PKS4_S6_EEv18rocblas_operation_S7_T0_S8_S8_T1_T2_lS8_S8_lT3_lS8_S8_lS9_T4_lS8_S8_l.num_vgpr, 0
	.set _ZN9rocsolver6v33100L16mfma_gemm_kernelI19rocblas_complex_numIdElS3_PS3_PKS4_S6_EEv18rocblas_operation_S7_T0_S8_S8_T1_T2_lS8_S8_lT3_lS8_S8_lS9_T4_lS8_S8_l.num_agpr, 0
	.set _ZN9rocsolver6v33100L16mfma_gemm_kernelI19rocblas_complex_numIdElS3_PS3_PKS4_S6_EEv18rocblas_operation_S7_T0_S8_S8_T1_T2_lS8_S8_lT3_lS8_S8_lS9_T4_lS8_S8_l.numbered_sgpr, 0
	.set _ZN9rocsolver6v33100L16mfma_gemm_kernelI19rocblas_complex_numIdElS3_PS3_PKS4_S6_EEv18rocblas_operation_S7_T0_S8_S8_T1_T2_lS8_S8_lT3_lS8_S8_lS9_T4_lS8_S8_l.num_named_barrier, 0
	.set _ZN9rocsolver6v33100L16mfma_gemm_kernelI19rocblas_complex_numIdElS3_PS3_PKS4_S6_EEv18rocblas_operation_S7_T0_S8_S8_T1_T2_lS8_S8_lT3_lS8_S8_lS9_T4_lS8_S8_l.private_seg_size, 0
	.set _ZN9rocsolver6v33100L16mfma_gemm_kernelI19rocblas_complex_numIdElS3_PS3_PKS4_S6_EEv18rocblas_operation_S7_T0_S8_S8_T1_T2_lS8_S8_lT3_lS8_S8_lS9_T4_lS8_S8_l.uses_vcc, 0
	.set _ZN9rocsolver6v33100L16mfma_gemm_kernelI19rocblas_complex_numIdElS3_PS3_PKS4_S6_EEv18rocblas_operation_S7_T0_S8_S8_T1_T2_lS8_S8_lT3_lS8_S8_lS9_T4_lS8_S8_l.uses_flat_scratch, 0
	.set _ZN9rocsolver6v33100L16mfma_gemm_kernelI19rocblas_complex_numIdElS3_PS3_PKS4_S6_EEv18rocblas_operation_S7_T0_S8_S8_T1_T2_lS8_S8_lT3_lS8_S8_lS9_T4_lS8_S8_l.has_dyn_sized_stack, 0
	.set _ZN9rocsolver6v33100L16mfma_gemm_kernelI19rocblas_complex_numIdElS3_PS3_PKS4_S6_EEv18rocblas_operation_S7_T0_S8_S8_T1_T2_lS8_S8_lT3_lS8_S8_lS9_T4_lS8_S8_l.has_recursion, 0
	.set _ZN9rocsolver6v33100L16mfma_gemm_kernelI19rocblas_complex_numIdElS3_PS3_PKS4_S6_EEv18rocblas_operation_S7_T0_S8_S8_T1_T2_lS8_S8_lT3_lS8_S8_lS9_T4_lS8_S8_l.has_indirect_call, 0
	.section	.AMDGPU.csdata,"",@progbits
; Kernel info:
; codeLenInByte = 4
; TotalNumSgprs: 0
; NumVgprs: 0
; ScratchSize: 0
; MemoryBound: 0
; FloatMode: 240
; IeeeMode: 1
; LDSByteSize: 0 bytes/workgroup (compile time only)
; SGPRBlocks: 0
; VGPRBlocks: 0
; NumSGPRsForWavesPerEU: 1
; NumVGPRsForWavesPerEU: 1
; NamedBarCnt: 0
; Occupancy: 16
; WaveLimiterHint : 0
; COMPUTE_PGM_RSRC2:SCRATCH_EN: 0
; COMPUTE_PGM_RSRC2:USER_SGPR: 2
; COMPUTE_PGM_RSRC2:TRAP_HANDLER: 0
; COMPUTE_PGM_RSRC2:TGID_X_EN: 1
; COMPUTE_PGM_RSRC2:TGID_Y_EN: 0
; COMPUTE_PGM_RSRC2:TGID_Z_EN: 0
; COMPUTE_PGM_RSRC2:TIDIG_COMP_CNT: 0
	.section	.text._ZN9rocsolver6v33100L11gemm_kernelI19rocblas_complex_numIdElPKS3_PS3_PKS6_S8_EEvT0_S9_S9_T1_bT2_lS9_S9_lbT3_lS9_S9_lSA_T4_lS9_S9_l,"axG",@progbits,_ZN9rocsolver6v33100L11gemm_kernelI19rocblas_complex_numIdElPKS3_PS3_PKS6_S8_EEvT0_S9_S9_T1_bT2_lS9_S9_lbT3_lS9_S9_lSA_T4_lS9_S9_l,comdat
	.globl	_ZN9rocsolver6v33100L11gemm_kernelI19rocblas_complex_numIdElPKS3_PS3_PKS6_S8_EEvT0_S9_S9_T1_bT2_lS9_S9_lbT3_lS9_S9_lSA_T4_lS9_S9_l ; -- Begin function _ZN9rocsolver6v33100L11gemm_kernelI19rocblas_complex_numIdElPKS3_PS3_PKS6_S8_EEvT0_S9_S9_T1_bT2_lS9_S9_lbT3_lS9_S9_lSA_T4_lS9_S9_l
	.p2align	8
	.type	_ZN9rocsolver6v33100L11gemm_kernelI19rocblas_complex_numIdElPKS3_PS3_PKS6_S8_EEvT0_S9_S9_T1_bT2_lS9_S9_lbT3_lS9_S9_lSA_T4_lS9_S9_l,@function
_ZN9rocsolver6v33100L11gemm_kernelI19rocblas_complex_numIdElPKS3_PS3_PKS6_S8_EEvT0_S9_S9_T1_bT2_lS9_S9_lbT3_lS9_S9_lSA_T4_lS9_S9_l: ; @_ZN9rocsolver6v33100L11gemm_kernelI19rocblas_complex_numIdElPKS3_PS3_PKS6_S8_EEvT0_S9_S9_T1_bT2_lS9_S9_lbT3_lS9_S9_lSA_T4_lS9_S9_l
; %bb.0:
	s_load_b32 s2, s[0:1], 0xbc
	s_bfe_u32 s13, ttmp6, 0x40010
	s_bfe_u32 s16, ttmp6, 0x4000c
	s_and_b32 s12, ttmp7, 0xffff
	s_add_co_i32 s13, s13, 1
	s_add_co_i32 s16, s16, 1
	s_bfe_u32 s14, ttmp6, 0x40004
	s_and_b32 s15, ttmp6, 15
	s_mul_i32 s13, s12, s13
	s_mul_i32 s16, ttmp9, s16
	s_getreg_b32 s3, hwreg(HW_REG_IB_STS2, 6, 4)
	v_mov_b32_e32 v5, 0
	v_and_b32_e32 v4, 0x3ff, v0
	s_add_co_i32 s14, s14, s13
	s_add_co_i32 s15, s15, s16
	s_load_b256 s[4:11], s[0:1], 0x0
	s_mov_b32 s31, 0
	s_wait_kmcnt 0x0
	s_lshr_b32 s13, s2, 16
	s_and_b32 s2, s2, 0xffff
	s_cmp_eq_u32 s3, 0
	s_cselect_b32 s15, ttmp9, s15
	s_delay_alu instid0(SALU_CYCLE_1)
	v_mad_nc_u64_u32 v[2:3], s2, s15, v[4:5]
	v_bfe_u32 v4, v0, 10, 10
	s_cselect_b32 s2, s12, s14
	s_delay_alu instid0(VALU_DEP_1) | instid1(SALU_CYCLE_1)
	v_mad_nc_u64_u32 v[0:1], s13, s2, v[4:5]
	s_delay_alu instid0(VALU_DEP_3) | instskip(NEXT) | instid1(VALU_DEP_2)
	v_cmp_gt_i64_e32 vcc_lo, s[4:5], v[2:3]
	v_cmp_gt_i64_e64 s2, s[6:7], v[0:1]
	s_and_b32 s2, vcc_lo, s2
	s_delay_alu instid0(SALU_CYCLE_1)
	s_and_saveexec_b32 s4, s2
	s_cbranch_execz .LBB44_6
; %bb.1:
	s_clause 0x1
	s_load_b256 s[12:19], s[0:1], 0x80
	s_load_b64 s[28:29], s[0:1], 0xa0
	s_bfe_u32 s2, ttmp6, 0x40014
	s_lshr_b32 s4, ttmp7, 16
	s_add_co_i32 s2, s2, 1
	v_cmp_lt_i64_e64 s5, s[8:9], 1
	s_mul_i32 s2, s4, s2
	s_bfe_u32 s6, ttmp6, 0x40008
	s_delay_alu instid0(SALU_CYCLE_1)
	s_add_co_i32 s6, s6, s2
	s_cmp_eq_u32 s3, 0
	s_cselect_b32 s30, s4, s6
	s_and_b32 vcc_lo, exec_lo, s5
	s_cbranch_vccnz .LBB44_4
; %bb.2:
	s_clause 0x3
	s_load_b256 s[20:27], s[0:1], 0x28
	s_load_b256 s[36:43], s[0:1], 0x58
	s_load_b32 s7, s[0:1], 0x20
	s_load_b96 s[4:6], s[0:1], 0x48
	s_wait_kmcnt 0x0
	s_load_b64 s[2:3], s[36:37], s30 offset:0x0 scale_offset
	v_mul_u64_e32 v[4:5], s[24:25], v[2:3]
	v_mul_u64_e32 v[6:7], s[42:43], v[0:1]
	s_bitcmp1_b32 s7, 0
	s_cselect_b32 vcc_lo, -1, 0
	s_bitcmp1_b32 s6, 0
	s_mul_u64 s[4:5], s[4:5], s[30:31]
	s_cselect_b32 s0, -1, 0
	s_lshl_b64 s[6:7], s[22:23], 4
	s_lshl_b64 s[4:5], s[4:5], 4
	s_add_nc_u64 s[6:7], s[20:21], s[6:7]
	s_lshl_b64 s[20:21], s[38:39], 4
	s_add_nc_u64 s[4:5], s[6:7], s[4:5]
	s_wait_kmcnt 0x0
	s_add_nc_u64 s[2:3], s[2:3], s[20:21]
	s_delay_alu instid0(VALU_DEP_2) | instskip(NEXT) | instid1(VALU_DEP_2)
	v_lshl_add_u64 v[8:9], v[4:5], 4, s[4:5]
	v_lshl_add_u64 v[6:7], v[6:7], 4, s[2:3]
	v_mov_b64_e32 v[4:5], 0
	s_lshl_b64 s[2:3], s[26:27], 4
	s_lshl_b64 s[4:5], s[40:41], 4
	v_add_nc_u64_e32 v[8:9], 8, v[8:9]
	v_add_nc_u64_e32 v[10:11], 8, v[6:7]
	v_mov_b64_e32 v[6:7], 0
.LBB44_3:                               ; =>This Inner Loop Header: Depth=1
	global_load_b128 v[12:15], v[8:9], off offset:-8
	flat_load_b128 v[16:19], v[10:11] offset:-8
	s_wait_xcnt 0x1
	v_add_nc_u64_e32 v[8:9], s[2:3], v[8:9]
	s_wait_xcnt 0x0
	v_add_nc_u64_e32 v[10:11], s[4:5], v[10:11]
	s_add_nc_u64 s[8:9], s[8:9], -1
	s_delay_alu instid0(SALU_CYCLE_1) | instskip(SKIP_4) | instid1(VALU_DEP_2)
	s_cmp_eq_u64 s[8:9], 0
	s_wait_loadcnt 0x1
	v_xor_b32_e32 v20, 0x80000000, v15
	s_wait_loadcnt_dscnt 0x0
	v_xor_b32_e32 v21, 0x80000000, v19
	v_cndmask_b32_e32 v15, v15, v20, vcc_lo
	s_delay_alu instid0(VALU_DEP_2) | instskip(NEXT) | instid1(VALU_DEP_1)
	v_cndmask_b32_e64 v19, v19, v21, s0
	v_mul_f64_e32 v[20:21], v[14:15], v[18:19]
	v_mul_f64_e32 v[14:15], v[14:15], v[16:17]
	s_delay_alu instid0(VALU_DEP_2) | instskip(NEXT) | instid1(VALU_DEP_2)
	v_fma_f64 v[16:17], v[12:13], v[16:17], -v[20:21]
	v_fmac_f64_e32 v[14:15], v[12:13], v[18:19]
	s_delay_alu instid0(VALU_DEP_2) | instskip(NEXT) | instid1(VALU_DEP_2)
	v_add_f64_e32 v[6:7], v[6:7], v[16:17]
	v_add_f64_e32 v[4:5], v[4:5], v[14:15]
	s_cbranch_scc0 .LBB44_3
	s_branch .LBB44_5
.LBB44_4:
	v_mov_b64_e32 v[4:5], 0
	v_mov_b64_e32 v[6:7], 0
.LBB44_5:
	s_wait_kmcnt 0x0
	v_mul_u64_e32 v[2:3], s[18:19], v[2:3]
	v_mul_u64_e32 v[0:1], s[28:29], v[0:1]
	s_load_b128 s[4:7], s[10:11], 0x0
	s_load_b128 s[0:3], s[12:13], 0x0
	s_load_b64 s[8:9], s[14:15], s30 offset:0x0 scale_offset
	s_wait_xcnt 0x0
	s_lshl_b64 s[10:11], s[16:17], 4
	s_wait_kmcnt 0x0
	s_delay_alu instid0(VALU_DEP_3)
	v_mul_f64_e32 v[10:11], s[6:7], v[4:5]
	v_mul_f64_e32 v[4:5], s[4:5], v[4:5]
	s_add_nc_u64 s[8:9], s[8:9], s[10:11]
	s_delay_alu instid0(VALU_DEP_4) | instid1(SALU_CYCLE_1)
	v_lshl_add_u64 v[2:3], v[2:3], 4, s[8:9]
	s_delay_alu instid0(VALU_DEP_1)
	v_lshl_add_u64 v[8:9], v[0:1], 4, v[2:3]
	flat_load_b128 v[0:3], v[8:9]
	v_fma_f64 v[10:11], s[4:5], v[6:7], -v[10:11]
	v_fmac_f64_e32 v[4:5], s[6:7], v[6:7]
	s_wait_loadcnt_dscnt 0x0
	v_mul_f64_e32 v[12:13], s[2:3], v[2:3]
	v_mul_f64_e32 v[2:3], s[0:1], v[2:3]
	s_delay_alu instid0(VALU_DEP_2) | instskip(NEXT) | instid1(VALU_DEP_2)
	v_fma_f64 v[6:7], s[0:1], v[0:1], -v[12:13]
	v_fmac_f64_e32 v[2:3], s[2:3], v[0:1]
	s_delay_alu instid0(VALU_DEP_2) | instskip(NEXT) | instid1(VALU_DEP_2)
	v_add_f64_e32 v[0:1], v[10:11], v[6:7]
	v_add_f64_e32 v[2:3], v[4:5], v[2:3]
	flat_store_b128 v[8:9], v[0:3]
.LBB44_6:
	s_endpgm
	.section	.rodata,"a",@progbits
	.p2align	6, 0x0
	.amdhsa_kernel _ZN9rocsolver6v33100L11gemm_kernelI19rocblas_complex_numIdElPKS3_PS3_PKS6_S8_EEvT0_S9_S9_T1_bT2_lS9_S9_lbT3_lS9_S9_lSA_T4_lS9_S9_l
		.amdhsa_group_segment_fixed_size 0
		.amdhsa_private_segment_fixed_size 0
		.amdhsa_kernarg_size 432
		.amdhsa_user_sgpr_count 2
		.amdhsa_user_sgpr_dispatch_ptr 0
		.amdhsa_user_sgpr_queue_ptr 0
		.amdhsa_user_sgpr_kernarg_segment_ptr 1
		.amdhsa_user_sgpr_dispatch_id 0
		.amdhsa_user_sgpr_kernarg_preload_length 0
		.amdhsa_user_sgpr_kernarg_preload_offset 0
		.amdhsa_user_sgpr_private_segment_size 0
		.amdhsa_wavefront_size32 1
		.amdhsa_uses_dynamic_stack 0
		.amdhsa_enable_private_segment 0
		.amdhsa_system_sgpr_workgroup_id_x 1
		.amdhsa_system_sgpr_workgroup_id_y 1
		.amdhsa_system_sgpr_workgroup_id_z 1
		.amdhsa_system_sgpr_workgroup_info 0
		.amdhsa_system_vgpr_workitem_id 1
		.amdhsa_next_free_vgpr 22
		.amdhsa_next_free_sgpr 44
		.amdhsa_named_barrier_count 0
		.amdhsa_reserve_vcc 1
		.amdhsa_float_round_mode_32 0
		.amdhsa_float_round_mode_16_64 0
		.amdhsa_float_denorm_mode_32 3
		.amdhsa_float_denorm_mode_16_64 3
		.amdhsa_fp16_overflow 0
		.amdhsa_memory_ordered 1
		.amdhsa_forward_progress 1
		.amdhsa_inst_pref_size 6
		.amdhsa_round_robin_scheduling 0
		.amdhsa_exception_fp_ieee_invalid_op 0
		.amdhsa_exception_fp_denorm_src 0
		.amdhsa_exception_fp_ieee_div_zero 0
		.amdhsa_exception_fp_ieee_overflow 0
		.amdhsa_exception_fp_ieee_underflow 0
		.amdhsa_exception_fp_ieee_inexact 0
		.amdhsa_exception_int_div_zero 0
	.end_amdhsa_kernel
	.section	.text._ZN9rocsolver6v33100L11gemm_kernelI19rocblas_complex_numIdElPKS3_PS3_PKS6_S8_EEvT0_S9_S9_T1_bT2_lS9_S9_lbT3_lS9_S9_lSA_T4_lS9_S9_l,"axG",@progbits,_ZN9rocsolver6v33100L11gemm_kernelI19rocblas_complex_numIdElPKS3_PS3_PKS6_S8_EEvT0_S9_S9_T1_bT2_lS9_S9_lbT3_lS9_S9_lSA_T4_lS9_S9_l,comdat
.Lfunc_end44:
	.size	_ZN9rocsolver6v33100L11gemm_kernelI19rocblas_complex_numIdElPKS3_PS3_PKS6_S8_EEvT0_S9_S9_T1_bT2_lS9_S9_lbT3_lS9_S9_lSA_T4_lS9_S9_l, .Lfunc_end44-_ZN9rocsolver6v33100L11gemm_kernelI19rocblas_complex_numIdElPKS3_PS3_PKS6_S8_EEvT0_S9_S9_T1_bT2_lS9_S9_lbT3_lS9_S9_lSA_T4_lS9_S9_l
                                        ; -- End function
	.set _ZN9rocsolver6v33100L11gemm_kernelI19rocblas_complex_numIdElPKS3_PS3_PKS6_S8_EEvT0_S9_S9_T1_bT2_lS9_S9_lbT3_lS9_S9_lSA_T4_lS9_S9_l.num_vgpr, 22
	.set _ZN9rocsolver6v33100L11gemm_kernelI19rocblas_complex_numIdElPKS3_PS3_PKS6_S8_EEvT0_S9_S9_T1_bT2_lS9_S9_lbT3_lS9_S9_lSA_T4_lS9_S9_l.num_agpr, 0
	.set _ZN9rocsolver6v33100L11gemm_kernelI19rocblas_complex_numIdElPKS3_PS3_PKS6_S8_EEvT0_S9_S9_T1_bT2_lS9_S9_lbT3_lS9_S9_lSA_T4_lS9_S9_l.numbered_sgpr, 44
	.set _ZN9rocsolver6v33100L11gemm_kernelI19rocblas_complex_numIdElPKS3_PS3_PKS6_S8_EEvT0_S9_S9_T1_bT2_lS9_S9_lbT3_lS9_S9_lSA_T4_lS9_S9_l.num_named_barrier, 0
	.set _ZN9rocsolver6v33100L11gemm_kernelI19rocblas_complex_numIdElPKS3_PS3_PKS6_S8_EEvT0_S9_S9_T1_bT2_lS9_S9_lbT3_lS9_S9_lSA_T4_lS9_S9_l.private_seg_size, 0
	.set _ZN9rocsolver6v33100L11gemm_kernelI19rocblas_complex_numIdElPKS3_PS3_PKS6_S8_EEvT0_S9_S9_T1_bT2_lS9_S9_lbT3_lS9_S9_lSA_T4_lS9_S9_l.uses_vcc, 1
	.set _ZN9rocsolver6v33100L11gemm_kernelI19rocblas_complex_numIdElPKS3_PS3_PKS6_S8_EEvT0_S9_S9_T1_bT2_lS9_S9_lbT3_lS9_S9_lSA_T4_lS9_S9_l.uses_flat_scratch, 0
	.set _ZN9rocsolver6v33100L11gemm_kernelI19rocblas_complex_numIdElPKS3_PS3_PKS6_S8_EEvT0_S9_S9_T1_bT2_lS9_S9_lbT3_lS9_S9_lSA_T4_lS9_S9_l.has_dyn_sized_stack, 0
	.set _ZN9rocsolver6v33100L11gemm_kernelI19rocblas_complex_numIdElPKS3_PS3_PKS6_S8_EEvT0_S9_S9_T1_bT2_lS9_S9_lbT3_lS9_S9_lSA_T4_lS9_S9_l.has_recursion, 0
	.set _ZN9rocsolver6v33100L11gemm_kernelI19rocblas_complex_numIdElPKS3_PS3_PKS6_S8_EEvT0_S9_S9_T1_bT2_lS9_S9_lbT3_lS9_S9_lSA_T4_lS9_S9_l.has_indirect_call, 0
	.section	.AMDGPU.csdata,"",@progbits
; Kernel info:
; codeLenInByte = 728
; TotalNumSgprs: 46
; NumVgprs: 22
; ScratchSize: 0
; MemoryBound: 0
; FloatMode: 240
; IeeeMode: 1
; LDSByteSize: 0 bytes/workgroup (compile time only)
; SGPRBlocks: 0
; VGPRBlocks: 1
; NumSGPRsForWavesPerEU: 46
; NumVGPRsForWavesPerEU: 22
; NamedBarCnt: 0
; Occupancy: 16
; WaveLimiterHint : 1
; COMPUTE_PGM_RSRC2:SCRATCH_EN: 0
; COMPUTE_PGM_RSRC2:USER_SGPR: 2
; COMPUTE_PGM_RSRC2:TRAP_HANDLER: 0
; COMPUTE_PGM_RSRC2:TGID_X_EN: 1
; COMPUTE_PGM_RSRC2:TGID_Y_EN: 1
; COMPUTE_PGM_RSRC2:TGID_Z_EN: 1
; COMPUTE_PGM_RSRC2:TIDIG_COMP_CNT: 1
	.section	.text._ZN9rocsolver6v33100L11gemm_kernelI19rocblas_complex_numIdElS3_PS3_PKS4_S6_EEvT0_S7_S7_T1_bT2_lS7_S7_lbT3_lS7_S7_lS8_T4_lS7_S7_l,"axG",@progbits,_ZN9rocsolver6v33100L11gemm_kernelI19rocblas_complex_numIdElS3_PS3_PKS4_S6_EEvT0_S7_S7_T1_bT2_lS7_S7_lbT3_lS7_S7_lS8_T4_lS7_S7_l,comdat
	.globl	_ZN9rocsolver6v33100L11gemm_kernelI19rocblas_complex_numIdElS3_PS3_PKS4_S6_EEvT0_S7_S7_T1_bT2_lS7_S7_lbT3_lS7_S7_lS8_T4_lS7_S7_l ; -- Begin function _ZN9rocsolver6v33100L11gemm_kernelI19rocblas_complex_numIdElS3_PS3_PKS4_S6_EEvT0_S7_S7_T1_bT2_lS7_S7_lbT3_lS7_S7_lS8_T4_lS7_S7_l
	.p2align	8
	.type	_ZN9rocsolver6v33100L11gemm_kernelI19rocblas_complex_numIdElS3_PS3_PKS4_S6_EEvT0_S7_S7_T1_bT2_lS7_S7_lbT3_lS7_S7_lS8_T4_lS7_S7_l,@function
_ZN9rocsolver6v33100L11gemm_kernelI19rocblas_complex_numIdElS3_PS3_PKS4_S6_EEvT0_S7_S7_T1_bT2_lS7_S7_lbT3_lS7_S7_lS8_T4_lS7_S7_l: ; @_ZN9rocsolver6v33100L11gemm_kernelI19rocblas_complex_numIdElS3_PS3_PKS4_S6_EEvT0_S7_S7_T1_bT2_lS7_S7_lbT3_lS7_S7_lS8_T4_lS7_S7_l
; %bb.0:
	s_load_b32 s2, s[0:1], 0xcc
	s_bfe_u32 s12, ttmp6, 0x40010
	s_bfe_u32 s15, ttmp6, 0x4000c
	s_and_b32 s3, ttmp7, 0xffff
	s_add_co_i32 s12, s12, 1
	s_add_co_i32 s15, s15, 1
	s_bfe_u32 s13, ttmp6, 0x40004
	s_and_b32 s14, ttmp6, 15
	s_mul_i32 s12, s3, s12
	s_mul_i32 s15, ttmp9, s15
	s_getreg_b32 s20, hwreg(HW_REG_IB_STS2, 6, 4)
	v_mov_b32_e32 v5, 0
	v_and_b32_e32 v4, 0x3ff, v0
	s_add_co_i32 s13, s13, s12
	s_add_co_i32 s14, s14, s15
	s_load_b256 s[4:11], s[0:1], 0x0
	s_mov_b32 s29, 0
	s_wait_kmcnt 0x0
	s_lshr_b32 s12, s2, 16
	s_and_b32 s2, s2, 0xffff
	s_cmp_eq_u32 s20, 0
	s_cselect_b32 s14, ttmp9, s14
	s_delay_alu instid0(SALU_CYCLE_1)
	v_mad_nc_u64_u32 v[2:3], s2, s14, v[4:5]
	v_bfe_u32 v4, v0, 10, 10
	s_cselect_b32 s2, s3, s13
	s_delay_alu instid0(VALU_DEP_1) | instid1(SALU_CYCLE_1)
	v_mad_nc_u64_u32 v[0:1], s12, s2, v[4:5]
	s_delay_alu instid0(VALU_DEP_3) | instskip(NEXT) | instid1(VALU_DEP_2)
	v_cmp_gt_i64_e32 vcc_lo, s[4:5], v[2:3]
	v_cmp_gt_i64_e64 s2, s[6:7], v[0:1]
	s_and_b32 s2, vcc_lo, s2
	s_delay_alu instid0(SALU_CYCLE_1)
	s_and_saveexec_b32 s3, s2
	s_cbranch_execz .LBB45_6
; %bb.1:
	s_clause 0x2
	s_load_b64 s[2:3], s[0:1], 0x20
	s_load_b256 s[12:19], s[0:1], 0x88
	s_load_b128 s[4:7], s[0:1], 0xa8
	s_bfe_u32 s21, ttmp6, 0x40014
	s_lshr_b32 s22, ttmp7, 16
	s_add_co_i32 s21, s21, 1
	v_cmp_lt_i64_e64 s23, s[8:9], 1
	s_mul_i32 s21, s22, s21
	s_bfe_u32 s24, ttmp6, 0x40008
	s_delay_alu instid0(SALU_CYCLE_1)
	s_add_co_i32 s24, s24, s21
	s_cmp_eq_u32 s20, 0
	s_cselect_b32 s28, s22, s24
	s_and_b32 vcc_lo, exec_lo, s23
	s_cbranch_vccnz .LBB45_4
; %bb.2:
	s_clause 0x2
	s_load_b256 s[20:27], s[0:1], 0x30
	s_load_b256 s[36:43], s[0:1], 0x60
	s_load_b32 s30, s[0:1], 0x28
	s_wait_kmcnt 0x0
	v_mul_u64_e32 v[4:5], s[24:25], v[2:3]
	v_mul_u64_e32 v[6:7], s[42:43], v[0:1]
	s_load_b96 s[44:46], s[0:1], 0x50
	s_load_b64 s[24:25], s[36:37], s28 offset:0x0 scale_offset
	s_bitcmp1_b32 s30, 0
	s_cselect_b32 vcc_lo, -1, 0
	s_wait_kmcnt 0x0
	s_bitcmp1_b32 s46, 0
	s_mul_u64 s[30:31], s[44:45], s[28:29]
	s_cselect_b32 s0, -1, 0
	s_lshl_b64 s[22:23], s[22:23], 4
	s_lshl_b64 s[30:31], s[30:31], 4
	s_add_nc_u64 s[20:21], s[20:21], s[22:23]
	s_lshl_b64 s[22:23], s[38:39], 4
	s_add_nc_u64 s[20:21], s[20:21], s[30:31]
	s_add_nc_u64 s[22:23], s[24:25], s[22:23]
	s_delay_alu instid0(VALU_DEP_2) | instskip(NEXT) | instid1(VALU_DEP_2)
	v_lshl_add_u64 v[8:9], v[4:5], 4, s[20:21]
	v_lshl_add_u64 v[6:7], v[6:7], 4, s[22:23]
	v_mov_b64_e32 v[4:5], 0
	s_lshl_b64 s[20:21], s[26:27], 4
	s_lshl_b64 s[22:23], s[40:41], 4
	v_add_nc_u64_e32 v[8:9], 8, v[8:9]
	v_add_nc_u64_e32 v[10:11], 8, v[6:7]
	v_mov_b64_e32 v[6:7], 0
.LBB45_3:                               ; =>This Inner Loop Header: Depth=1
	global_load_b128 v[12:15], v[8:9], off offset:-8
	flat_load_b128 v[16:19], v[10:11] offset:-8
	s_wait_xcnt 0x1
	v_add_nc_u64_e32 v[8:9], s[20:21], v[8:9]
	s_wait_xcnt 0x0
	v_add_nc_u64_e32 v[10:11], s[22:23], v[10:11]
	s_add_nc_u64 s[8:9], s[8:9], -1
	s_delay_alu instid0(SALU_CYCLE_1) | instskip(SKIP_4) | instid1(VALU_DEP_2)
	s_cmp_eq_u64 s[8:9], 0
	s_wait_loadcnt 0x1
	v_xor_b32_e32 v20, 0x80000000, v15
	s_wait_loadcnt_dscnt 0x0
	v_xor_b32_e32 v21, 0x80000000, v19
	v_cndmask_b32_e32 v15, v15, v20, vcc_lo
	s_delay_alu instid0(VALU_DEP_2) | instskip(NEXT) | instid1(VALU_DEP_1)
	v_cndmask_b32_e64 v19, v19, v21, s0
	v_mul_f64_e32 v[20:21], v[14:15], v[18:19]
	v_mul_f64_e32 v[14:15], v[14:15], v[16:17]
	s_delay_alu instid0(VALU_DEP_2) | instskip(NEXT) | instid1(VALU_DEP_2)
	v_fma_f64 v[16:17], v[12:13], v[16:17], -v[20:21]
	v_fmac_f64_e32 v[14:15], v[12:13], v[18:19]
	s_delay_alu instid0(VALU_DEP_2) | instskip(NEXT) | instid1(VALU_DEP_2)
	v_add_f64_e32 v[6:7], v[6:7], v[16:17]
	v_add_f64_e32 v[4:5], v[4:5], v[14:15]
	s_cbranch_scc0 .LBB45_3
	s_branch .LBB45_5
.LBB45_4:
	v_mov_b64_e32 v[4:5], 0
	v_mov_b64_e32 v[6:7], 0
.LBB45_5:
	s_wait_kmcnt 0x0
	v_mul_u64_e32 v[2:3], s[4:5], v[2:3]
	v_mul_u64_e32 v[0:1], s[6:7], v[0:1]
	s_load_b64 s[0:1], s[16:17], s28 offset:0x0 scale_offset
	s_lshl_b64 s[4:5], s[18:19], 4
	s_delay_alu instid0(VALU_DEP_3)
	v_mul_f64_e32 v[10:11], s[2:3], v[4:5]
	v_mul_f64_e32 v[4:5], s[10:11], v[4:5]
	s_wait_kmcnt 0x0
	s_add_nc_u64 s[0:1], s[0:1], s[4:5]
	s_delay_alu instid0(VALU_DEP_4) | instid1(SALU_CYCLE_1)
	v_lshl_add_u64 v[2:3], v[2:3], 4, s[0:1]
	s_delay_alu instid0(VALU_DEP_3) | instskip(NEXT) | instid1(VALU_DEP_2)
	v_fma_f64 v[10:11], s[10:11], v[6:7], -v[10:11]
	v_lshl_add_u64 v[8:9], v[0:1], 4, v[2:3]
	s_delay_alu instid0(VALU_DEP_4) | instskip(SKIP_4) | instid1(VALU_DEP_2)
	v_fmac_f64_e32 v[4:5], s[2:3], v[6:7]
	flat_load_b128 v[0:3], v[8:9]
	s_wait_loadcnt_dscnt 0x0
	v_mul_f64_e32 v[12:13], s[14:15], v[2:3]
	v_mul_f64_e32 v[2:3], s[12:13], v[2:3]
	v_fma_f64 v[6:7], s[12:13], v[0:1], -v[12:13]
	s_delay_alu instid0(VALU_DEP_2) | instskip(NEXT) | instid1(VALU_DEP_2)
	v_fmac_f64_e32 v[2:3], s[14:15], v[0:1]
	v_add_f64_e32 v[0:1], v[10:11], v[6:7]
	s_delay_alu instid0(VALU_DEP_2)
	v_add_f64_e32 v[2:3], v[4:5], v[2:3]
	flat_store_b128 v[8:9], v[0:3]
.LBB45_6:
	s_endpgm
	.section	.rodata,"a",@progbits
	.p2align	6, 0x0
	.amdhsa_kernel _ZN9rocsolver6v33100L11gemm_kernelI19rocblas_complex_numIdElS3_PS3_PKS4_S6_EEvT0_S7_S7_T1_bT2_lS7_S7_lbT3_lS7_S7_lS8_T4_lS7_S7_l
		.amdhsa_group_segment_fixed_size 0
		.amdhsa_private_segment_fixed_size 0
		.amdhsa_kernarg_size 448
		.amdhsa_user_sgpr_count 2
		.amdhsa_user_sgpr_dispatch_ptr 0
		.amdhsa_user_sgpr_queue_ptr 0
		.amdhsa_user_sgpr_kernarg_segment_ptr 1
		.amdhsa_user_sgpr_dispatch_id 0
		.amdhsa_user_sgpr_kernarg_preload_length 0
		.amdhsa_user_sgpr_kernarg_preload_offset 0
		.amdhsa_user_sgpr_private_segment_size 0
		.amdhsa_wavefront_size32 1
		.amdhsa_uses_dynamic_stack 0
		.amdhsa_enable_private_segment 0
		.amdhsa_system_sgpr_workgroup_id_x 1
		.amdhsa_system_sgpr_workgroup_id_y 1
		.amdhsa_system_sgpr_workgroup_id_z 1
		.amdhsa_system_sgpr_workgroup_info 0
		.amdhsa_system_vgpr_workitem_id 1
		.amdhsa_next_free_vgpr 22
		.amdhsa_next_free_sgpr 47
		.amdhsa_named_barrier_count 0
		.amdhsa_reserve_vcc 1
		.amdhsa_float_round_mode_32 0
		.amdhsa_float_round_mode_16_64 0
		.amdhsa_float_denorm_mode_32 3
		.amdhsa_float_denorm_mode_16_64 3
		.amdhsa_fp16_overflow 0
		.amdhsa_memory_ordered 1
		.amdhsa_forward_progress 1
		.amdhsa_inst_pref_size 6
		.amdhsa_round_robin_scheduling 0
		.amdhsa_exception_fp_ieee_invalid_op 0
		.amdhsa_exception_fp_denorm_src 0
		.amdhsa_exception_fp_ieee_div_zero 0
		.amdhsa_exception_fp_ieee_overflow 0
		.amdhsa_exception_fp_ieee_underflow 0
		.amdhsa_exception_fp_ieee_inexact 0
		.amdhsa_exception_int_div_zero 0
	.end_amdhsa_kernel
	.section	.text._ZN9rocsolver6v33100L11gemm_kernelI19rocblas_complex_numIdElS3_PS3_PKS4_S6_EEvT0_S7_S7_T1_bT2_lS7_S7_lbT3_lS7_S7_lS8_T4_lS7_S7_l,"axG",@progbits,_ZN9rocsolver6v33100L11gemm_kernelI19rocblas_complex_numIdElS3_PS3_PKS4_S6_EEvT0_S7_S7_T1_bT2_lS7_S7_lbT3_lS7_S7_lS8_T4_lS7_S7_l,comdat
.Lfunc_end45:
	.size	_ZN9rocsolver6v33100L11gemm_kernelI19rocblas_complex_numIdElS3_PS3_PKS4_S6_EEvT0_S7_S7_T1_bT2_lS7_S7_lbT3_lS7_S7_lS8_T4_lS7_S7_l, .Lfunc_end45-_ZN9rocsolver6v33100L11gemm_kernelI19rocblas_complex_numIdElS3_PS3_PKS4_S6_EEvT0_S7_S7_T1_bT2_lS7_S7_lbT3_lS7_S7_lS8_T4_lS7_S7_l
                                        ; -- End function
	.set _ZN9rocsolver6v33100L11gemm_kernelI19rocblas_complex_numIdElS3_PS3_PKS4_S6_EEvT0_S7_S7_T1_bT2_lS7_S7_lbT3_lS7_S7_lS8_T4_lS7_S7_l.num_vgpr, 22
	.set _ZN9rocsolver6v33100L11gemm_kernelI19rocblas_complex_numIdElS3_PS3_PKS4_S6_EEvT0_S7_S7_T1_bT2_lS7_S7_lbT3_lS7_S7_lS8_T4_lS7_S7_l.num_agpr, 0
	.set _ZN9rocsolver6v33100L11gemm_kernelI19rocblas_complex_numIdElS3_PS3_PKS4_S6_EEvT0_S7_S7_T1_bT2_lS7_S7_lbT3_lS7_S7_lS8_T4_lS7_S7_l.numbered_sgpr, 47
	.set _ZN9rocsolver6v33100L11gemm_kernelI19rocblas_complex_numIdElS3_PS3_PKS4_S6_EEvT0_S7_S7_T1_bT2_lS7_S7_lbT3_lS7_S7_lS8_T4_lS7_S7_l.num_named_barrier, 0
	.set _ZN9rocsolver6v33100L11gemm_kernelI19rocblas_complex_numIdElS3_PS3_PKS4_S6_EEvT0_S7_S7_T1_bT2_lS7_S7_lbT3_lS7_S7_lS8_T4_lS7_S7_l.private_seg_size, 0
	.set _ZN9rocsolver6v33100L11gemm_kernelI19rocblas_complex_numIdElS3_PS3_PKS4_S6_EEvT0_S7_S7_T1_bT2_lS7_S7_lbT3_lS7_S7_lS8_T4_lS7_S7_l.uses_vcc, 1
	.set _ZN9rocsolver6v33100L11gemm_kernelI19rocblas_complex_numIdElS3_PS3_PKS4_S6_EEvT0_S7_S7_T1_bT2_lS7_S7_lbT3_lS7_S7_lS8_T4_lS7_S7_l.uses_flat_scratch, 0
	.set _ZN9rocsolver6v33100L11gemm_kernelI19rocblas_complex_numIdElS3_PS3_PKS4_S6_EEvT0_S7_S7_T1_bT2_lS7_S7_lbT3_lS7_S7_lS8_T4_lS7_S7_l.has_dyn_sized_stack, 0
	.set _ZN9rocsolver6v33100L11gemm_kernelI19rocblas_complex_numIdElS3_PS3_PKS4_S6_EEvT0_S7_S7_T1_bT2_lS7_S7_lbT3_lS7_S7_lS8_T4_lS7_S7_l.has_recursion, 0
	.set _ZN9rocsolver6v33100L11gemm_kernelI19rocblas_complex_numIdElS3_PS3_PKS4_S6_EEvT0_S7_S7_T1_bT2_lS7_S7_lbT3_lS7_S7_lS8_T4_lS7_S7_l.has_indirect_call, 0
	.section	.AMDGPU.csdata,"",@progbits
; Kernel info:
; codeLenInByte = 720
; TotalNumSgprs: 49
; NumVgprs: 22
; ScratchSize: 0
; MemoryBound: 0
; FloatMode: 240
; IeeeMode: 1
; LDSByteSize: 0 bytes/workgroup (compile time only)
; SGPRBlocks: 0
; VGPRBlocks: 1
; NumSGPRsForWavesPerEU: 49
; NumVGPRsForWavesPerEU: 22
; NamedBarCnt: 0
; Occupancy: 16
; WaveLimiterHint : 1
; COMPUTE_PGM_RSRC2:SCRATCH_EN: 0
; COMPUTE_PGM_RSRC2:USER_SGPR: 2
; COMPUTE_PGM_RSRC2:TRAP_HANDLER: 0
; COMPUTE_PGM_RSRC2:TGID_X_EN: 1
; COMPUTE_PGM_RSRC2:TGID_Y_EN: 1
; COMPUTE_PGM_RSRC2:TGID_Z_EN: 1
; COMPUTE_PGM_RSRC2:TIDIG_COMP_CNT: 1
	.section	.text._ZN9rocsolver6v33100L16mfma_gemm_kernelI19rocblas_complex_numIdElPKS3_PKPS3_S6_S8_EEv18rocblas_operation_S9_T0_SA_SA_T1_T2_lSA_SA_lT3_lSA_SA_lSB_T4_lSA_SA_l,"axG",@progbits,_ZN9rocsolver6v33100L16mfma_gemm_kernelI19rocblas_complex_numIdElPKS3_PKPS3_S6_S8_EEv18rocblas_operation_S9_T0_SA_SA_T1_T2_lSA_SA_lT3_lSA_SA_lSB_T4_lSA_SA_l,comdat
	.globl	_ZN9rocsolver6v33100L16mfma_gemm_kernelI19rocblas_complex_numIdElPKS3_PKPS3_S6_S8_EEv18rocblas_operation_S9_T0_SA_SA_T1_T2_lSA_SA_lT3_lSA_SA_lSB_T4_lSA_SA_l ; -- Begin function _ZN9rocsolver6v33100L16mfma_gemm_kernelI19rocblas_complex_numIdElPKS3_PKPS3_S6_S8_EEv18rocblas_operation_S9_T0_SA_SA_T1_T2_lSA_SA_lT3_lSA_SA_lSB_T4_lSA_SA_l
	.p2align	8
	.type	_ZN9rocsolver6v33100L16mfma_gemm_kernelI19rocblas_complex_numIdElPKS3_PKPS3_S6_S8_EEv18rocblas_operation_S9_T0_SA_SA_T1_T2_lSA_SA_lT3_lSA_SA_lSB_T4_lSA_SA_l,@function
_ZN9rocsolver6v33100L16mfma_gemm_kernelI19rocblas_complex_numIdElPKS3_PKPS3_S6_S8_EEv18rocblas_operation_S9_T0_SA_SA_T1_T2_lSA_SA_lT3_lSA_SA_lSB_T4_lSA_SA_l: ; @_ZN9rocsolver6v33100L16mfma_gemm_kernelI19rocblas_complex_numIdElPKS3_PKPS3_S6_S8_EEv18rocblas_operation_S9_T0_SA_SA_T1_T2_lSA_SA_lT3_lSA_SA_lSB_T4_lSA_SA_l
; %bb.0:
	s_endpgm
	.section	.rodata,"a",@progbits
	.p2align	6, 0x0
	.amdhsa_kernel _ZN9rocsolver6v33100L16mfma_gemm_kernelI19rocblas_complex_numIdElPKS3_PKPS3_S6_S8_EEv18rocblas_operation_S9_T0_SA_SA_T1_T2_lSA_SA_lT3_lSA_SA_lSB_T4_lSA_SA_l
		.amdhsa_group_segment_fixed_size 0
		.amdhsa_private_segment_fixed_size 0
		.amdhsa_kernarg_size 168
		.amdhsa_user_sgpr_count 2
		.amdhsa_user_sgpr_dispatch_ptr 0
		.amdhsa_user_sgpr_queue_ptr 0
		.amdhsa_user_sgpr_kernarg_segment_ptr 1
		.amdhsa_user_sgpr_dispatch_id 0
		.amdhsa_user_sgpr_kernarg_preload_length 0
		.amdhsa_user_sgpr_kernarg_preload_offset 0
		.amdhsa_user_sgpr_private_segment_size 0
		.amdhsa_wavefront_size32 1
		.amdhsa_uses_dynamic_stack 0
		.amdhsa_enable_private_segment 0
		.amdhsa_system_sgpr_workgroup_id_x 1
		.amdhsa_system_sgpr_workgroup_id_y 0
		.amdhsa_system_sgpr_workgroup_id_z 0
		.amdhsa_system_sgpr_workgroup_info 0
		.amdhsa_system_vgpr_workitem_id 0
		.amdhsa_next_free_vgpr 1
		.amdhsa_next_free_sgpr 1
		.amdhsa_named_barrier_count 0
		.amdhsa_reserve_vcc 0
		.amdhsa_float_round_mode_32 0
		.amdhsa_float_round_mode_16_64 0
		.amdhsa_float_denorm_mode_32 3
		.amdhsa_float_denorm_mode_16_64 3
		.amdhsa_fp16_overflow 0
		.amdhsa_memory_ordered 1
		.amdhsa_forward_progress 1
		.amdhsa_inst_pref_size 1
		.amdhsa_round_robin_scheduling 0
		.amdhsa_exception_fp_ieee_invalid_op 0
		.amdhsa_exception_fp_denorm_src 0
		.amdhsa_exception_fp_ieee_div_zero 0
		.amdhsa_exception_fp_ieee_overflow 0
		.amdhsa_exception_fp_ieee_underflow 0
		.amdhsa_exception_fp_ieee_inexact 0
		.amdhsa_exception_int_div_zero 0
	.end_amdhsa_kernel
	.section	.text._ZN9rocsolver6v33100L16mfma_gemm_kernelI19rocblas_complex_numIdElPKS3_PKPS3_S6_S8_EEv18rocblas_operation_S9_T0_SA_SA_T1_T2_lSA_SA_lT3_lSA_SA_lSB_T4_lSA_SA_l,"axG",@progbits,_ZN9rocsolver6v33100L16mfma_gemm_kernelI19rocblas_complex_numIdElPKS3_PKPS3_S6_S8_EEv18rocblas_operation_S9_T0_SA_SA_T1_T2_lSA_SA_lT3_lSA_SA_lSB_T4_lSA_SA_l,comdat
.Lfunc_end46:
	.size	_ZN9rocsolver6v33100L16mfma_gemm_kernelI19rocblas_complex_numIdElPKS3_PKPS3_S6_S8_EEv18rocblas_operation_S9_T0_SA_SA_T1_T2_lSA_SA_lT3_lSA_SA_lSB_T4_lSA_SA_l, .Lfunc_end46-_ZN9rocsolver6v33100L16mfma_gemm_kernelI19rocblas_complex_numIdElPKS3_PKPS3_S6_S8_EEv18rocblas_operation_S9_T0_SA_SA_T1_T2_lSA_SA_lT3_lSA_SA_lSB_T4_lSA_SA_l
                                        ; -- End function
	.set _ZN9rocsolver6v33100L16mfma_gemm_kernelI19rocblas_complex_numIdElPKS3_PKPS3_S6_S8_EEv18rocblas_operation_S9_T0_SA_SA_T1_T2_lSA_SA_lT3_lSA_SA_lSB_T4_lSA_SA_l.num_vgpr, 0
	.set _ZN9rocsolver6v33100L16mfma_gemm_kernelI19rocblas_complex_numIdElPKS3_PKPS3_S6_S8_EEv18rocblas_operation_S9_T0_SA_SA_T1_T2_lSA_SA_lT3_lSA_SA_lSB_T4_lSA_SA_l.num_agpr, 0
	.set _ZN9rocsolver6v33100L16mfma_gemm_kernelI19rocblas_complex_numIdElPKS3_PKPS3_S6_S8_EEv18rocblas_operation_S9_T0_SA_SA_T1_T2_lSA_SA_lT3_lSA_SA_lSB_T4_lSA_SA_l.numbered_sgpr, 0
	.set _ZN9rocsolver6v33100L16mfma_gemm_kernelI19rocblas_complex_numIdElPKS3_PKPS3_S6_S8_EEv18rocblas_operation_S9_T0_SA_SA_T1_T2_lSA_SA_lT3_lSA_SA_lSB_T4_lSA_SA_l.num_named_barrier, 0
	.set _ZN9rocsolver6v33100L16mfma_gemm_kernelI19rocblas_complex_numIdElPKS3_PKPS3_S6_S8_EEv18rocblas_operation_S9_T0_SA_SA_T1_T2_lSA_SA_lT3_lSA_SA_lSB_T4_lSA_SA_l.private_seg_size, 0
	.set _ZN9rocsolver6v33100L16mfma_gemm_kernelI19rocblas_complex_numIdElPKS3_PKPS3_S6_S8_EEv18rocblas_operation_S9_T0_SA_SA_T1_T2_lSA_SA_lT3_lSA_SA_lSB_T4_lSA_SA_l.uses_vcc, 0
	.set _ZN9rocsolver6v33100L16mfma_gemm_kernelI19rocblas_complex_numIdElPKS3_PKPS3_S6_S8_EEv18rocblas_operation_S9_T0_SA_SA_T1_T2_lSA_SA_lT3_lSA_SA_lSB_T4_lSA_SA_l.uses_flat_scratch, 0
	.set _ZN9rocsolver6v33100L16mfma_gemm_kernelI19rocblas_complex_numIdElPKS3_PKPS3_S6_S8_EEv18rocblas_operation_S9_T0_SA_SA_T1_T2_lSA_SA_lT3_lSA_SA_lSB_T4_lSA_SA_l.has_dyn_sized_stack, 0
	.set _ZN9rocsolver6v33100L16mfma_gemm_kernelI19rocblas_complex_numIdElPKS3_PKPS3_S6_S8_EEv18rocblas_operation_S9_T0_SA_SA_T1_T2_lSA_SA_lT3_lSA_SA_lSB_T4_lSA_SA_l.has_recursion, 0
	.set _ZN9rocsolver6v33100L16mfma_gemm_kernelI19rocblas_complex_numIdElPKS3_PKPS3_S6_S8_EEv18rocblas_operation_S9_T0_SA_SA_T1_T2_lSA_SA_lT3_lSA_SA_lSB_T4_lSA_SA_l.has_indirect_call, 0
	.section	.AMDGPU.csdata,"",@progbits
; Kernel info:
; codeLenInByte = 4
; TotalNumSgprs: 0
; NumVgprs: 0
; ScratchSize: 0
; MemoryBound: 0
; FloatMode: 240
; IeeeMode: 1
; LDSByteSize: 0 bytes/workgroup (compile time only)
; SGPRBlocks: 0
; VGPRBlocks: 0
; NumSGPRsForWavesPerEU: 1
; NumVGPRsForWavesPerEU: 1
; NamedBarCnt: 0
; Occupancy: 16
; WaveLimiterHint : 0
; COMPUTE_PGM_RSRC2:SCRATCH_EN: 0
; COMPUTE_PGM_RSRC2:USER_SGPR: 2
; COMPUTE_PGM_RSRC2:TRAP_HANDLER: 0
; COMPUTE_PGM_RSRC2:TGID_X_EN: 1
; COMPUTE_PGM_RSRC2:TGID_Y_EN: 0
; COMPUTE_PGM_RSRC2:TGID_Z_EN: 0
; COMPUTE_PGM_RSRC2:TIDIG_COMP_CNT: 0
	.section	.text._ZN9rocsolver6v33100L16mfma_gemm_kernelI19rocblas_complex_numIdElS3_PKPS3_S4_S6_EEv18rocblas_operation_S7_T0_S8_S8_T1_T2_lS8_S8_lT3_lS8_S8_lS9_T4_lS8_S8_l,"axG",@progbits,_ZN9rocsolver6v33100L16mfma_gemm_kernelI19rocblas_complex_numIdElS3_PKPS3_S4_S6_EEv18rocblas_operation_S7_T0_S8_S8_T1_T2_lS8_S8_lT3_lS8_S8_lS9_T4_lS8_S8_l,comdat
	.globl	_ZN9rocsolver6v33100L16mfma_gemm_kernelI19rocblas_complex_numIdElS3_PKPS3_S4_S6_EEv18rocblas_operation_S7_T0_S8_S8_T1_T2_lS8_S8_lT3_lS8_S8_lS9_T4_lS8_S8_l ; -- Begin function _ZN9rocsolver6v33100L16mfma_gemm_kernelI19rocblas_complex_numIdElS3_PKPS3_S4_S6_EEv18rocblas_operation_S7_T0_S8_S8_T1_T2_lS8_S8_lT3_lS8_S8_lS9_T4_lS8_S8_l
	.p2align	8
	.type	_ZN9rocsolver6v33100L16mfma_gemm_kernelI19rocblas_complex_numIdElS3_PKPS3_S4_S6_EEv18rocblas_operation_S7_T0_S8_S8_T1_T2_lS8_S8_lT3_lS8_S8_lS9_T4_lS8_S8_l,@function
_ZN9rocsolver6v33100L16mfma_gemm_kernelI19rocblas_complex_numIdElS3_PKPS3_S4_S6_EEv18rocblas_operation_S7_T0_S8_S8_T1_T2_lS8_S8_lT3_lS8_S8_lS9_T4_lS8_S8_l: ; @_ZN9rocsolver6v33100L16mfma_gemm_kernelI19rocblas_complex_numIdElS3_PKPS3_S4_S6_EEv18rocblas_operation_S7_T0_S8_S8_T1_T2_lS8_S8_lT3_lS8_S8_lS9_T4_lS8_S8_l
; %bb.0:
	s_endpgm
	.section	.rodata,"a",@progbits
	.p2align	6, 0x0
	.amdhsa_kernel _ZN9rocsolver6v33100L16mfma_gemm_kernelI19rocblas_complex_numIdElS3_PKPS3_S4_S6_EEv18rocblas_operation_S7_T0_S8_S8_T1_T2_lS8_S8_lT3_lS8_S8_lS9_T4_lS8_S8_l
		.amdhsa_group_segment_fixed_size 0
		.amdhsa_private_segment_fixed_size 0
		.amdhsa_kernarg_size 184
		.amdhsa_user_sgpr_count 2
		.amdhsa_user_sgpr_dispatch_ptr 0
		.amdhsa_user_sgpr_queue_ptr 0
		.amdhsa_user_sgpr_kernarg_segment_ptr 1
		.amdhsa_user_sgpr_dispatch_id 0
		.amdhsa_user_sgpr_kernarg_preload_length 0
		.amdhsa_user_sgpr_kernarg_preload_offset 0
		.amdhsa_user_sgpr_private_segment_size 0
		.amdhsa_wavefront_size32 1
		.amdhsa_uses_dynamic_stack 0
		.amdhsa_enable_private_segment 0
		.amdhsa_system_sgpr_workgroup_id_x 1
		.amdhsa_system_sgpr_workgroup_id_y 0
		.amdhsa_system_sgpr_workgroup_id_z 0
		.amdhsa_system_sgpr_workgroup_info 0
		.amdhsa_system_vgpr_workitem_id 0
		.amdhsa_next_free_vgpr 1
		.amdhsa_next_free_sgpr 1
		.amdhsa_named_barrier_count 0
		.amdhsa_reserve_vcc 0
		.amdhsa_float_round_mode_32 0
		.amdhsa_float_round_mode_16_64 0
		.amdhsa_float_denorm_mode_32 3
		.amdhsa_float_denorm_mode_16_64 3
		.amdhsa_fp16_overflow 0
		.amdhsa_memory_ordered 1
		.amdhsa_forward_progress 1
		.amdhsa_inst_pref_size 1
		.amdhsa_round_robin_scheduling 0
		.amdhsa_exception_fp_ieee_invalid_op 0
		.amdhsa_exception_fp_denorm_src 0
		.amdhsa_exception_fp_ieee_div_zero 0
		.amdhsa_exception_fp_ieee_overflow 0
		.amdhsa_exception_fp_ieee_underflow 0
		.amdhsa_exception_fp_ieee_inexact 0
		.amdhsa_exception_int_div_zero 0
	.end_amdhsa_kernel
	.section	.text._ZN9rocsolver6v33100L16mfma_gemm_kernelI19rocblas_complex_numIdElS3_PKPS3_S4_S6_EEv18rocblas_operation_S7_T0_S8_S8_T1_T2_lS8_S8_lT3_lS8_S8_lS9_T4_lS8_S8_l,"axG",@progbits,_ZN9rocsolver6v33100L16mfma_gemm_kernelI19rocblas_complex_numIdElS3_PKPS3_S4_S6_EEv18rocblas_operation_S7_T0_S8_S8_T1_T2_lS8_S8_lT3_lS8_S8_lS9_T4_lS8_S8_l,comdat
.Lfunc_end47:
	.size	_ZN9rocsolver6v33100L16mfma_gemm_kernelI19rocblas_complex_numIdElS3_PKPS3_S4_S6_EEv18rocblas_operation_S7_T0_S8_S8_T1_T2_lS8_S8_lT3_lS8_S8_lS9_T4_lS8_S8_l, .Lfunc_end47-_ZN9rocsolver6v33100L16mfma_gemm_kernelI19rocblas_complex_numIdElS3_PKPS3_S4_S6_EEv18rocblas_operation_S7_T0_S8_S8_T1_T2_lS8_S8_lT3_lS8_S8_lS9_T4_lS8_S8_l
                                        ; -- End function
	.set _ZN9rocsolver6v33100L16mfma_gemm_kernelI19rocblas_complex_numIdElS3_PKPS3_S4_S6_EEv18rocblas_operation_S7_T0_S8_S8_T1_T2_lS8_S8_lT3_lS8_S8_lS9_T4_lS8_S8_l.num_vgpr, 0
	.set _ZN9rocsolver6v33100L16mfma_gemm_kernelI19rocblas_complex_numIdElS3_PKPS3_S4_S6_EEv18rocblas_operation_S7_T0_S8_S8_T1_T2_lS8_S8_lT3_lS8_S8_lS9_T4_lS8_S8_l.num_agpr, 0
	.set _ZN9rocsolver6v33100L16mfma_gemm_kernelI19rocblas_complex_numIdElS3_PKPS3_S4_S6_EEv18rocblas_operation_S7_T0_S8_S8_T1_T2_lS8_S8_lT3_lS8_S8_lS9_T4_lS8_S8_l.numbered_sgpr, 0
	.set _ZN9rocsolver6v33100L16mfma_gemm_kernelI19rocblas_complex_numIdElS3_PKPS3_S4_S6_EEv18rocblas_operation_S7_T0_S8_S8_T1_T2_lS8_S8_lT3_lS8_S8_lS9_T4_lS8_S8_l.num_named_barrier, 0
	.set _ZN9rocsolver6v33100L16mfma_gemm_kernelI19rocblas_complex_numIdElS3_PKPS3_S4_S6_EEv18rocblas_operation_S7_T0_S8_S8_T1_T2_lS8_S8_lT3_lS8_S8_lS9_T4_lS8_S8_l.private_seg_size, 0
	.set _ZN9rocsolver6v33100L16mfma_gemm_kernelI19rocblas_complex_numIdElS3_PKPS3_S4_S6_EEv18rocblas_operation_S7_T0_S8_S8_T1_T2_lS8_S8_lT3_lS8_S8_lS9_T4_lS8_S8_l.uses_vcc, 0
	.set _ZN9rocsolver6v33100L16mfma_gemm_kernelI19rocblas_complex_numIdElS3_PKPS3_S4_S6_EEv18rocblas_operation_S7_T0_S8_S8_T1_T2_lS8_S8_lT3_lS8_S8_lS9_T4_lS8_S8_l.uses_flat_scratch, 0
	.set _ZN9rocsolver6v33100L16mfma_gemm_kernelI19rocblas_complex_numIdElS3_PKPS3_S4_S6_EEv18rocblas_operation_S7_T0_S8_S8_T1_T2_lS8_S8_lT3_lS8_S8_lS9_T4_lS8_S8_l.has_dyn_sized_stack, 0
	.set _ZN9rocsolver6v33100L16mfma_gemm_kernelI19rocblas_complex_numIdElS3_PKPS3_S4_S6_EEv18rocblas_operation_S7_T0_S8_S8_T1_T2_lS8_S8_lT3_lS8_S8_lS9_T4_lS8_S8_l.has_recursion, 0
	.set _ZN9rocsolver6v33100L16mfma_gemm_kernelI19rocblas_complex_numIdElS3_PKPS3_S4_S6_EEv18rocblas_operation_S7_T0_S8_S8_T1_T2_lS8_S8_lT3_lS8_S8_lS9_T4_lS8_S8_l.has_indirect_call, 0
	.section	.AMDGPU.csdata,"",@progbits
; Kernel info:
; codeLenInByte = 4
; TotalNumSgprs: 0
; NumVgprs: 0
; ScratchSize: 0
; MemoryBound: 0
; FloatMode: 240
; IeeeMode: 1
; LDSByteSize: 0 bytes/workgroup (compile time only)
; SGPRBlocks: 0
; VGPRBlocks: 0
; NumSGPRsForWavesPerEU: 1
; NumVGPRsForWavesPerEU: 1
; NamedBarCnt: 0
; Occupancy: 16
; WaveLimiterHint : 0
; COMPUTE_PGM_RSRC2:SCRATCH_EN: 0
; COMPUTE_PGM_RSRC2:USER_SGPR: 2
; COMPUTE_PGM_RSRC2:TRAP_HANDLER: 0
; COMPUTE_PGM_RSRC2:TGID_X_EN: 1
; COMPUTE_PGM_RSRC2:TGID_Y_EN: 0
; COMPUTE_PGM_RSRC2:TGID_Z_EN: 0
; COMPUTE_PGM_RSRC2:TIDIG_COMP_CNT: 0
	.section	.text._ZN9rocsolver6v33100L11gemm_kernelI19rocblas_complex_numIdElPKS3_PKPS3_S6_S8_EEvT0_S9_S9_T1_bT2_lS9_S9_lbT3_lS9_S9_lSA_T4_lS9_S9_l,"axG",@progbits,_ZN9rocsolver6v33100L11gemm_kernelI19rocblas_complex_numIdElPKS3_PKPS3_S6_S8_EEvT0_S9_S9_T1_bT2_lS9_S9_lbT3_lS9_S9_lSA_T4_lS9_S9_l,comdat
	.globl	_ZN9rocsolver6v33100L11gemm_kernelI19rocblas_complex_numIdElPKS3_PKPS3_S6_S8_EEvT0_S9_S9_T1_bT2_lS9_S9_lbT3_lS9_S9_lSA_T4_lS9_S9_l ; -- Begin function _ZN9rocsolver6v33100L11gemm_kernelI19rocblas_complex_numIdElPKS3_PKPS3_S6_S8_EEvT0_S9_S9_T1_bT2_lS9_S9_lbT3_lS9_S9_lSA_T4_lS9_S9_l
	.p2align	8
	.type	_ZN9rocsolver6v33100L11gemm_kernelI19rocblas_complex_numIdElPKS3_PKPS3_S6_S8_EEvT0_S9_S9_T1_bT2_lS9_S9_lbT3_lS9_S9_lSA_T4_lS9_S9_l,@function
_ZN9rocsolver6v33100L11gemm_kernelI19rocblas_complex_numIdElPKS3_PKPS3_S6_S8_EEvT0_S9_S9_T1_bT2_lS9_S9_lbT3_lS9_S9_lSA_T4_lS9_S9_l: ; @_ZN9rocsolver6v33100L11gemm_kernelI19rocblas_complex_numIdElPKS3_PKPS3_S6_S8_EEvT0_S9_S9_T1_bT2_lS9_S9_lbT3_lS9_S9_lSA_T4_lS9_S9_l
; %bb.0:
	s_load_b32 s2, s[0:1], 0xbc
	s_bfe_u32 s5, ttmp6, 0x40010
	s_bfe_u32 s8, ttmp6, 0x4000c
	s_and_b32 s4, ttmp7, 0xffff
	s_add_co_i32 s5, s5, 1
	s_add_co_i32 s8, s8, 1
	s_bfe_u32 s6, ttmp6, 0x40004
	s_and_b32 s7, ttmp6, 15
	s_mul_i32 s5, s4, s5
	s_mul_i32 s8, ttmp9, s8
	s_getreg_b32 s3, hwreg(HW_REG_IB_STS2, 6, 4)
	v_mov_b32_e32 v5, 0
	v_and_b32_e32 v4, 0x3ff, v0
	s_add_co_i32 s6, s6, s5
	s_add_co_i32 s7, s7, s8
	s_load_b256 s[16:23], s[0:1], 0x0
	s_mov_b32 s35, 0
	s_wait_kmcnt 0x0
	s_lshr_b32 s5, s2, 16
	s_and_b32 s2, s2, 0xffff
	s_cmp_eq_u32 s3, 0
	s_cselect_b32 s7, ttmp9, s7
	s_delay_alu instid0(SALU_CYCLE_1)
	v_mad_nc_u64_u32 v[2:3], s2, s7, v[4:5]
	v_bfe_u32 v4, v0, 10, 10
	s_cselect_b32 s2, s4, s6
	s_delay_alu instid0(VALU_DEP_1) | instid1(SALU_CYCLE_1)
	v_mad_nc_u64_u32 v[0:1], s5, s2, v[4:5]
	s_delay_alu instid0(VALU_DEP_3) | instskip(NEXT) | instid1(VALU_DEP_2)
	v_cmp_gt_i64_e32 vcc_lo, s[16:17], v[2:3]
	v_cmp_gt_i64_e64 s2, s[18:19], v[0:1]
	s_and_b32 s2, vcc_lo, s2
	s_delay_alu instid0(SALU_CYCLE_1)
	s_and_saveexec_b32 s4, s2
	s_cbranch_execz .LBB48_6
; %bb.1:
	s_load_b512 s[4:19], s[0:1], 0x58
	s_bfe_u32 s2, ttmp6, 0x40014
	s_lshr_b32 s24, ttmp7, 16
	s_add_co_i32 s2, s2, 1
	v_cmp_lt_i64_e64 s25, s[20:21], 1
	s_mul_i32 s2, s24, s2
	s_bfe_u32 s26, ttmp6, 0x40008
	s_delay_alu instid0(SALU_CYCLE_1)
	s_add_co_i32 s26, s26, s2
	s_cmp_eq_u32 s3, 0
	s_cselect_b32 s34, s24, s26
	s_and_b32 vcc_lo, exec_lo, s25
	s_cbranch_vccnz .LBB48_4
; %bb.2:
	s_clause 0x1
	s_load_b256 s[24:31], s[0:1], 0x28
	s_load_b32 s2, s[0:1], 0x20
	s_wait_kmcnt 0x0
	v_mul_u64_e32 v[4:5], s[10:11], v[0:1]
	s_mul_u64 s[12:13], s[12:13], s[34:35]
	s_load_b32 s3, s[0:1], 0x50
	s_load_b64 s[10:11], s[24:25], s34 offset:0x0 scale_offset
	v_mul_u64_e32 v[6:7], s[28:29], v[2:3]
	s_bitcmp1_b32 s2, 0
	s_cselect_b32 vcc_lo, -1, 0
	s_wait_kmcnt 0x0
	s_bitcmp1_b32 s3, 0
	s_cselect_b32 s2, -1, 0
	s_lshl_b64 s[6:7], s[6:7], 4
	s_lshl_b64 s[12:13], s[12:13], 4
	s_add_nc_u64 s[4:5], s[4:5], s[6:7]
	s_lshl_b64 s[6:7], s[26:27], 4
	s_add_nc_u64 s[4:5], s[4:5], s[12:13]
	s_add_nc_u64 s[6:7], s[10:11], s[6:7]
	s_delay_alu instid0(VALU_DEP_2) | instskip(SKIP_2) | instid1(VALU_DEP_3)
	v_lshl_add_u64 v[8:9], v[4:5], 4, s[4:5]
	v_mov_b64_e32 v[4:5], 0
	s_lshl_b64 s[4:5], s[30:31], 4
	v_lshl_add_u64 v[6:7], v[6:7], 4, s[6:7]
	s_delay_alu instid0(VALU_DEP_3) | instskip(SKIP_1) | instid1(VALU_DEP_2)
	v_add_nc_u64_e32 v[8:9], 8, v[8:9]
	s_lshl_b64 s[6:7], s[8:9], 4
	v_add_nc_u64_e32 v[10:11], 8, v[6:7]
	v_mov_b64_e32 v[6:7], 0
.LBB48_3:                               ; =>This Inner Loop Header: Depth=1
	flat_load_b128 v[12:15], v[10:11] offset:-8
	global_load_b128 v[16:19], v[8:9], off offset:-8
	s_wait_xcnt 0x1
	v_add_nc_u64_e32 v[10:11], s[4:5], v[10:11]
	s_wait_xcnt 0x0
	v_add_nc_u64_e32 v[8:9], s[6:7], v[8:9]
	s_add_nc_u64 s[20:21], s[20:21], -1
	s_delay_alu instid0(SALU_CYCLE_1) | instskip(SKIP_4) | instid1(VALU_DEP_2)
	s_cmp_eq_u64 s[20:21], 0
	s_wait_loadcnt_dscnt 0x100
	v_xor_b32_e32 v20, 0x80000000, v15
	s_wait_loadcnt 0x0
	v_xor_b32_e32 v21, 0x80000000, v19
	v_cndmask_b32_e32 v15, v15, v20, vcc_lo
	s_delay_alu instid0(VALU_DEP_2) | instskip(NEXT) | instid1(VALU_DEP_1)
	v_cndmask_b32_e64 v19, v19, v21, s2
	v_mul_f64_e32 v[20:21], v[14:15], v[18:19]
	v_mul_f64_e32 v[14:15], v[14:15], v[16:17]
	s_delay_alu instid0(VALU_DEP_2) | instskip(NEXT) | instid1(VALU_DEP_2)
	v_fma_f64 v[16:17], v[12:13], v[16:17], -v[20:21]
	v_fmac_f64_e32 v[14:15], v[12:13], v[18:19]
	s_delay_alu instid0(VALU_DEP_2) | instskip(NEXT) | instid1(VALU_DEP_2)
	v_add_f64_e32 v[6:7], v[6:7], v[16:17]
	v_add_f64_e32 v[4:5], v[4:5], v[14:15]
	s_cbranch_scc0 .LBB48_3
	s_branch .LBB48_5
.LBB48_4:
	v_mov_b64_e32 v[4:5], 0
	v_mov_b64_e32 v[6:7], 0
.LBB48_5:
	s_wait_kmcnt 0x0
	s_load_b128 s[8:11], s[22:23], 0x0
	s_load_b128 s[4:7], s[14:15], 0x0
	s_load_b64 s[2:3], s[16:17], s34 offset:0x0 scale_offset
                                        ; kill: killed $sgpr34
                                        ; kill: killed $sgpr22_sgpr23
                                        ; kill: killed $sgpr14_sgpr15 killed $sgpr16_sgpr17
	s_wait_xcnt 0x0
	s_load_b128 s[12:15], s[0:1], 0x98
	s_wait_xcnt 0x0
	s_lshl_b64 s[0:1], s[18:19], 4
	s_wait_kmcnt 0x0
	s_delay_alu instid0(VALU_DEP_1) | instskip(SKIP_4) | instid1(VALU_DEP_4)
	v_mul_f64_e32 v[10:11], s[10:11], v[4:5]
	v_mul_f64_e32 v[4:5], s[8:9], v[4:5]
	s_add_nc_u64 s[0:1], s[2:3], s[0:1]
	v_mul_u64_e32 v[2:3], s[12:13], v[2:3]
	v_mul_u64_e32 v[0:1], s[14:15], v[0:1]
	v_fma_f64 v[10:11], s[8:9], v[6:7], -v[10:11]
	s_delay_alu instid0(VALU_DEP_4) | instskip(NEXT) | instid1(VALU_DEP_4)
	v_fmac_f64_e32 v[4:5], s[10:11], v[6:7]
	v_lshl_add_u64 v[2:3], v[2:3], 4, s[0:1]
	s_delay_alu instid0(VALU_DEP_1) | instskip(SKIP_4) | instid1(VALU_DEP_2)
	v_lshl_add_u64 v[8:9], v[0:1], 4, v[2:3]
	flat_load_b128 v[0:3], v[8:9]
	s_wait_loadcnt_dscnt 0x0
	v_mul_f64_e32 v[12:13], s[6:7], v[2:3]
	v_mul_f64_e32 v[2:3], s[4:5], v[2:3]
	v_fma_f64 v[6:7], s[4:5], v[0:1], -v[12:13]
	s_delay_alu instid0(VALU_DEP_2) | instskip(NEXT) | instid1(VALU_DEP_2)
	v_fmac_f64_e32 v[2:3], s[6:7], v[0:1]
	v_add_f64_e32 v[0:1], v[10:11], v[6:7]
	s_delay_alu instid0(VALU_DEP_2)
	v_add_f64_e32 v[2:3], v[4:5], v[2:3]
	flat_store_b128 v[8:9], v[0:3]
.LBB48_6:
	s_endpgm
	.section	.rodata,"a",@progbits
	.p2align	6, 0x0
	.amdhsa_kernel _ZN9rocsolver6v33100L11gemm_kernelI19rocblas_complex_numIdElPKS3_PKPS3_S6_S8_EEvT0_S9_S9_T1_bT2_lS9_S9_lbT3_lS9_S9_lSA_T4_lS9_S9_l
		.amdhsa_group_segment_fixed_size 0
		.amdhsa_private_segment_fixed_size 0
		.amdhsa_kernarg_size 432
		.amdhsa_user_sgpr_count 2
		.amdhsa_user_sgpr_dispatch_ptr 0
		.amdhsa_user_sgpr_queue_ptr 0
		.amdhsa_user_sgpr_kernarg_segment_ptr 1
		.amdhsa_user_sgpr_dispatch_id 0
		.amdhsa_user_sgpr_kernarg_preload_length 0
		.amdhsa_user_sgpr_kernarg_preload_offset 0
		.amdhsa_user_sgpr_private_segment_size 0
		.amdhsa_wavefront_size32 1
		.amdhsa_uses_dynamic_stack 0
		.amdhsa_enable_private_segment 0
		.amdhsa_system_sgpr_workgroup_id_x 1
		.amdhsa_system_sgpr_workgroup_id_y 1
		.amdhsa_system_sgpr_workgroup_id_z 1
		.amdhsa_system_sgpr_workgroup_info 0
		.amdhsa_system_vgpr_workitem_id 1
		.amdhsa_next_free_vgpr 22
		.amdhsa_next_free_sgpr 36
		.amdhsa_named_barrier_count 0
		.amdhsa_reserve_vcc 1
		.amdhsa_float_round_mode_32 0
		.amdhsa_float_round_mode_16_64 0
		.amdhsa_float_denorm_mode_32 3
		.amdhsa_float_denorm_mode_16_64 3
		.amdhsa_fp16_overflow 0
		.amdhsa_memory_ordered 1
		.amdhsa_forward_progress 1
		.amdhsa_inst_pref_size 6
		.amdhsa_round_robin_scheduling 0
		.amdhsa_exception_fp_ieee_invalid_op 0
		.amdhsa_exception_fp_denorm_src 0
		.amdhsa_exception_fp_ieee_div_zero 0
		.amdhsa_exception_fp_ieee_overflow 0
		.amdhsa_exception_fp_ieee_underflow 0
		.amdhsa_exception_fp_ieee_inexact 0
		.amdhsa_exception_int_div_zero 0
	.end_amdhsa_kernel
	.section	.text._ZN9rocsolver6v33100L11gemm_kernelI19rocblas_complex_numIdElPKS3_PKPS3_S6_S8_EEvT0_S9_S9_T1_bT2_lS9_S9_lbT3_lS9_S9_lSA_T4_lS9_S9_l,"axG",@progbits,_ZN9rocsolver6v33100L11gemm_kernelI19rocblas_complex_numIdElPKS3_PKPS3_S6_S8_EEvT0_S9_S9_T1_bT2_lS9_S9_lbT3_lS9_S9_lSA_T4_lS9_S9_l,comdat
.Lfunc_end48:
	.size	_ZN9rocsolver6v33100L11gemm_kernelI19rocblas_complex_numIdElPKS3_PKPS3_S6_S8_EEvT0_S9_S9_T1_bT2_lS9_S9_lbT3_lS9_S9_lSA_T4_lS9_S9_l, .Lfunc_end48-_ZN9rocsolver6v33100L11gemm_kernelI19rocblas_complex_numIdElPKS3_PKPS3_S6_S8_EEvT0_S9_S9_T1_bT2_lS9_S9_lbT3_lS9_S9_lSA_T4_lS9_S9_l
                                        ; -- End function
	.set _ZN9rocsolver6v33100L11gemm_kernelI19rocblas_complex_numIdElPKS3_PKPS3_S6_S8_EEvT0_S9_S9_T1_bT2_lS9_S9_lbT3_lS9_S9_lSA_T4_lS9_S9_l.num_vgpr, 22
	.set _ZN9rocsolver6v33100L11gemm_kernelI19rocblas_complex_numIdElPKS3_PKPS3_S6_S8_EEvT0_S9_S9_T1_bT2_lS9_S9_lbT3_lS9_S9_lSA_T4_lS9_S9_l.num_agpr, 0
	.set _ZN9rocsolver6v33100L11gemm_kernelI19rocblas_complex_numIdElPKS3_PKPS3_S6_S8_EEvT0_S9_S9_T1_bT2_lS9_S9_lbT3_lS9_S9_lSA_T4_lS9_S9_l.numbered_sgpr, 36
	.set _ZN9rocsolver6v33100L11gemm_kernelI19rocblas_complex_numIdElPKS3_PKPS3_S6_S8_EEvT0_S9_S9_T1_bT2_lS9_S9_lbT3_lS9_S9_lSA_T4_lS9_S9_l.num_named_barrier, 0
	.set _ZN9rocsolver6v33100L11gemm_kernelI19rocblas_complex_numIdElPKS3_PKPS3_S6_S8_EEvT0_S9_S9_T1_bT2_lS9_S9_lbT3_lS9_S9_lSA_T4_lS9_S9_l.private_seg_size, 0
	.set _ZN9rocsolver6v33100L11gemm_kernelI19rocblas_complex_numIdElPKS3_PKPS3_S6_S8_EEvT0_S9_S9_T1_bT2_lS9_S9_lbT3_lS9_S9_lSA_T4_lS9_S9_l.uses_vcc, 1
	.set _ZN9rocsolver6v33100L11gemm_kernelI19rocblas_complex_numIdElPKS3_PKPS3_S6_S8_EEvT0_S9_S9_T1_bT2_lS9_S9_lbT3_lS9_S9_lSA_T4_lS9_S9_l.uses_flat_scratch, 0
	.set _ZN9rocsolver6v33100L11gemm_kernelI19rocblas_complex_numIdElPKS3_PKPS3_S6_S8_EEvT0_S9_S9_T1_bT2_lS9_S9_lbT3_lS9_S9_lSA_T4_lS9_S9_l.has_dyn_sized_stack, 0
	.set _ZN9rocsolver6v33100L11gemm_kernelI19rocblas_complex_numIdElPKS3_PKPS3_S6_S8_EEvT0_S9_S9_T1_bT2_lS9_S9_lbT3_lS9_S9_lSA_T4_lS9_S9_l.has_recursion, 0
	.set _ZN9rocsolver6v33100L11gemm_kernelI19rocblas_complex_numIdElPKS3_PKPS3_S6_S8_EEvT0_S9_S9_T1_bT2_lS9_S9_lbT3_lS9_S9_lSA_T4_lS9_S9_l.has_indirect_call, 0
	.section	.AMDGPU.csdata,"",@progbits
; Kernel info:
; codeLenInByte = 724
; TotalNumSgprs: 38
; NumVgprs: 22
; ScratchSize: 0
; MemoryBound: 0
; FloatMode: 240
; IeeeMode: 1
; LDSByteSize: 0 bytes/workgroup (compile time only)
; SGPRBlocks: 0
; VGPRBlocks: 1
; NumSGPRsForWavesPerEU: 38
; NumVGPRsForWavesPerEU: 22
; NamedBarCnt: 0
; Occupancy: 16
; WaveLimiterHint : 1
; COMPUTE_PGM_RSRC2:SCRATCH_EN: 0
; COMPUTE_PGM_RSRC2:USER_SGPR: 2
; COMPUTE_PGM_RSRC2:TRAP_HANDLER: 0
; COMPUTE_PGM_RSRC2:TGID_X_EN: 1
; COMPUTE_PGM_RSRC2:TGID_Y_EN: 1
; COMPUTE_PGM_RSRC2:TGID_Z_EN: 1
; COMPUTE_PGM_RSRC2:TIDIG_COMP_CNT: 1
	.section	.text._ZN9rocsolver6v33100L11gemm_kernelI19rocblas_complex_numIdElS3_PKPS3_S4_S6_EEvT0_S7_S7_T1_bT2_lS7_S7_lbT3_lS7_S7_lS8_T4_lS7_S7_l,"axG",@progbits,_ZN9rocsolver6v33100L11gemm_kernelI19rocblas_complex_numIdElS3_PKPS3_S4_S6_EEvT0_S7_S7_T1_bT2_lS7_S7_lbT3_lS7_S7_lS8_T4_lS7_S7_l,comdat
	.globl	_ZN9rocsolver6v33100L11gemm_kernelI19rocblas_complex_numIdElS3_PKPS3_S4_S6_EEvT0_S7_S7_T1_bT2_lS7_S7_lbT3_lS7_S7_lS8_T4_lS7_S7_l ; -- Begin function _ZN9rocsolver6v33100L11gemm_kernelI19rocblas_complex_numIdElS3_PKPS3_S4_S6_EEvT0_S7_S7_T1_bT2_lS7_S7_lbT3_lS7_S7_lS8_T4_lS7_S7_l
	.p2align	8
	.type	_ZN9rocsolver6v33100L11gemm_kernelI19rocblas_complex_numIdElS3_PKPS3_S4_S6_EEvT0_S7_S7_T1_bT2_lS7_S7_lbT3_lS7_S7_lS8_T4_lS7_S7_l,@function
_ZN9rocsolver6v33100L11gemm_kernelI19rocblas_complex_numIdElS3_PKPS3_S4_S6_EEvT0_S7_S7_T1_bT2_lS7_S7_lbT3_lS7_S7_lS8_T4_lS7_S7_l: ; @_ZN9rocsolver6v33100L11gemm_kernelI19rocblas_complex_numIdElS3_PKPS3_S4_S6_EEvT0_S7_S7_T1_bT2_lS7_S7_lbT3_lS7_S7_lS8_T4_lS7_S7_l
; %bb.0:
	s_load_b32 s2, s[0:1], 0xcc
	s_bfe_u32 s5, ttmp6, 0x40010
	s_bfe_u32 s8, ttmp6, 0x4000c
	s_and_b32 s4, ttmp7, 0xffff
	s_add_co_i32 s5, s5, 1
	s_add_co_i32 s8, s8, 1
	s_bfe_u32 s6, ttmp6, 0x40004
	s_and_b32 s7, ttmp6, 15
	s_mul_i32 s5, s4, s5
	s_mul_i32 s8, ttmp9, s8
	s_getreg_b32 s3, hwreg(HW_REG_IB_STS2, 6, 4)
	v_mov_b32_e32 v5, 0
	v_and_b32_e32 v4, 0x3ff, v0
	s_add_co_i32 s6, s6, s5
	s_add_co_i32 s7, s7, s8
	s_load_b256 s[16:23], s[0:1], 0x0
	s_mov_b32 s37, 0
	s_wait_kmcnt 0x0
	s_lshr_b32 s5, s2, 16
	s_and_b32 s2, s2, 0xffff
	s_cmp_eq_u32 s3, 0
	s_cselect_b32 s7, ttmp9, s7
	s_delay_alu instid0(SALU_CYCLE_1)
	v_mad_nc_u64_u32 v[2:3], s2, s7, v[4:5]
	v_bfe_u32 v4, v0, 10, 10
	s_cselect_b32 s2, s4, s6
	s_delay_alu instid0(VALU_DEP_1) | instid1(SALU_CYCLE_1)
	v_mad_nc_u64_u32 v[0:1], s5, s2, v[4:5]
	s_delay_alu instid0(VALU_DEP_3) | instskip(NEXT) | instid1(VALU_DEP_2)
	v_cmp_gt_i64_e32 vcc_lo, s[16:17], v[2:3]
	v_cmp_gt_i64_e64 s2, s[18:19], v[0:1]
	s_and_b32 s2, vcc_lo, s2
	s_delay_alu instid0(SALU_CYCLE_1)
	s_and_saveexec_b32 s4, s2
	s_cbranch_execz .LBB49_6
; %bb.1:
	s_clause 0x1
	s_load_b64 s[34:35], s[0:1], 0x20
	s_load_b512 s[4:19], s[0:1], 0x60
	s_bfe_u32 s2, ttmp6, 0x40014
	s_lshr_b32 s24, ttmp7, 16
	s_add_co_i32 s2, s2, 1
	v_cmp_lt_i64_e64 s25, s[20:21], 1
	s_mul_i32 s2, s24, s2
	s_bfe_u32 s26, ttmp6, 0x40008
	s_delay_alu instid0(SALU_CYCLE_1)
	s_add_co_i32 s26, s26, s2
	s_cmp_eq_u32 s3, 0
	s_cselect_b32 s36, s24, s26
	s_and_b32 vcc_lo, exec_lo, s25
	s_cbranch_vccnz .LBB49_4
; %bb.2:
	s_clause 0x1
	s_load_b256 s[24:31], s[0:1], 0x30
	s_load_b32 s2, s[0:1], 0x28
	s_wait_kmcnt 0x0
	v_mul_u64_e32 v[4:5], s[10:11], v[0:1]
	s_mul_u64 s[12:13], s[12:13], s[36:37]
	s_load_b32 s3, s[0:1], 0x58
	s_load_b64 s[10:11], s[24:25], s36 offset:0x0 scale_offset
	v_mul_u64_e32 v[6:7], s[28:29], v[2:3]
	s_bitcmp1_b32 s2, 0
	s_cselect_b32 vcc_lo, -1, 0
	s_wait_kmcnt 0x0
	s_bitcmp1_b32 s3, 0
	s_cselect_b32 s2, -1, 0
	s_lshl_b64 s[6:7], s[6:7], 4
	s_lshl_b64 s[12:13], s[12:13], 4
	s_add_nc_u64 s[4:5], s[4:5], s[6:7]
	s_lshl_b64 s[6:7], s[26:27], 4
	s_add_nc_u64 s[4:5], s[4:5], s[12:13]
	s_add_nc_u64 s[6:7], s[10:11], s[6:7]
	s_delay_alu instid0(VALU_DEP_2) | instskip(SKIP_2) | instid1(VALU_DEP_3)
	v_lshl_add_u64 v[8:9], v[4:5], 4, s[4:5]
	v_mov_b64_e32 v[4:5], 0
	s_lshl_b64 s[4:5], s[30:31], 4
	v_lshl_add_u64 v[6:7], v[6:7], 4, s[6:7]
	s_delay_alu instid0(VALU_DEP_3) | instskip(SKIP_1) | instid1(VALU_DEP_2)
	v_add_nc_u64_e32 v[8:9], 8, v[8:9]
	s_lshl_b64 s[6:7], s[8:9], 4
	v_add_nc_u64_e32 v[10:11], 8, v[6:7]
	v_mov_b64_e32 v[6:7], 0
.LBB49_3:                               ; =>This Inner Loop Header: Depth=1
	flat_load_b128 v[12:15], v[10:11] offset:-8
	global_load_b128 v[16:19], v[8:9], off offset:-8
	s_wait_xcnt 0x1
	v_add_nc_u64_e32 v[10:11], s[4:5], v[10:11]
	s_wait_xcnt 0x0
	v_add_nc_u64_e32 v[8:9], s[6:7], v[8:9]
	s_add_nc_u64 s[20:21], s[20:21], -1
	s_delay_alu instid0(SALU_CYCLE_1) | instskip(SKIP_4) | instid1(VALU_DEP_2)
	s_cmp_eq_u64 s[20:21], 0
	s_wait_loadcnt_dscnt 0x100
	v_xor_b32_e32 v20, 0x80000000, v15
	s_wait_loadcnt 0x0
	v_xor_b32_e32 v21, 0x80000000, v19
	v_cndmask_b32_e32 v15, v15, v20, vcc_lo
	s_delay_alu instid0(VALU_DEP_2) | instskip(NEXT) | instid1(VALU_DEP_1)
	v_cndmask_b32_e64 v19, v19, v21, s2
	v_mul_f64_e32 v[20:21], v[14:15], v[18:19]
	v_mul_f64_e32 v[14:15], v[14:15], v[16:17]
	s_delay_alu instid0(VALU_DEP_2) | instskip(NEXT) | instid1(VALU_DEP_2)
	v_fma_f64 v[16:17], v[12:13], v[16:17], -v[20:21]
	v_fmac_f64_e32 v[14:15], v[12:13], v[18:19]
	s_delay_alu instid0(VALU_DEP_2) | instskip(NEXT) | instid1(VALU_DEP_2)
	v_add_f64_e32 v[6:7], v[6:7], v[16:17]
	v_add_f64_e32 v[4:5], v[4:5], v[14:15]
	s_cbranch_scc0 .LBB49_3
	s_branch .LBB49_5
.LBB49_4:
	v_mov_b64_e32 v[4:5], 0
	v_mov_b64_e32 v[6:7], 0
.LBB49_5:
	s_wait_kmcnt 0x0
	s_load_b64 s[2:3], s[18:19], s36 offset:0x0 scale_offset
	s_clause 0x1
	s_load_b128 s[4:7], s[0:1], 0xa0
	s_load_b64 s[8:9], s[0:1], 0xb0
	s_delay_alu instid0(VALU_DEP_1)
	v_mul_f64_e32 v[10:11], s[34:35], v[4:5]
	v_mul_f64_e32 v[4:5], s[22:23], v[4:5]
	s_wait_kmcnt 0x0
	v_mul_u64_e32 v[2:3], s[6:7], v[2:3]
	v_mul_u64_e32 v[0:1], s[8:9], v[0:1]
	s_lshl_b64 s[0:1], s[4:5], 4
	s_delay_alu instid0(SALU_CYCLE_1) | instskip(NEXT) | instid1(VALU_DEP_4)
	s_add_nc_u64 s[0:1], s[2:3], s[0:1]
	v_fma_f64 v[10:11], s[22:23], v[6:7], -v[10:11]
	s_delay_alu instid0(VALU_DEP_4) | instskip(NEXT) | instid1(VALU_DEP_4)
	v_fmac_f64_e32 v[4:5], s[34:35], v[6:7]
	v_lshl_add_u64 v[2:3], v[2:3], 4, s[0:1]
	s_delay_alu instid0(VALU_DEP_1) | instskip(SKIP_4) | instid1(VALU_DEP_2)
	v_lshl_add_u64 v[8:9], v[0:1], 4, v[2:3]
	flat_load_b128 v[0:3], v[8:9]
	s_wait_loadcnt_dscnt 0x0
	v_mul_f64_e32 v[12:13], s[16:17], v[2:3]
	v_mul_f64_e32 v[2:3], s[14:15], v[2:3]
	v_fma_f64 v[6:7], s[14:15], v[0:1], -v[12:13]
	s_delay_alu instid0(VALU_DEP_2) | instskip(NEXT) | instid1(VALU_DEP_2)
	v_fmac_f64_e32 v[2:3], s[16:17], v[0:1]
	v_add_f64_e32 v[0:1], v[10:11], v[6:7]
	s_delay_alu instid0(VALU_DEP_2)
	v_add_f64_e32 v[2:3], v[4:5], v[2:3]
	flat_store_b128 v[8:9], v[0:3]
.LBB49_6:
	s_endpgm
	.section	.rodata,"a",@progbits
	.p2align	6, 0x0
	.amdhsa_kernel _ZN9rocsolver6v33100L11gemm_kernelI19rocblas_complex_numIdElS3_PKPS3_S4_S6_EEvT0_S7_S7_T1_bT2_lS7_S7_lbT3_lS7_S7_lS8_T4_lS7_S7_l
		.amdhsa_group_segment_fixed_size 0
		.amdhsa_private_segment_fixed_size 0
		.amdhsa_kernarg_size 448
		.amdhsa_user_sgpr_count 2
		.amdhsa_user_sgpr_dispatch_ptr 0
		.amdhsa_user_sgpr_queue_ptr 0
		.amdhsa_user_sgpr_kernarg_segment_ptr 1
		.amdhsa_user_sgpr_dispatch_id 0
		.amdhsa_user_sgpr_kernarg_preload_length 0
		.amdhsa_user_sgpr_kernarg_preload_offset 0
		.amdhsa_user_sgpr_private_segment_size 0
		.amdhsa_wavefront_size32 1
		.amdhsa_uses_dynamic_stack 0
		.amdhsa_enable_private_segment 0
		.amdhsa_system_sgpr_workgroup_id_x 1
		.amdhsa_system_sgpr_workgroup_id_y 1
		.amdhsa_system_sgpr_workgroup_id_z 1
		.amdhsa_system_sgpr_workgroup_info 0
		.amdhsa_system_vgpr_workitem_id 1
		.amdhsa_next_free_vgpr 22
		.amdhsa_next_free_sgpr 38
		.amdhsa_named_barrier_count 0
		.amdhsa_reserve_vcc 1
		.amdhsa_float_round_mode_32 0
		.amdhsa_float_round_mode_16_64 0
		.amdhsa_float_denorm_mode_32 3
		.amdhsa_float_denorm_mode_16_64 3
		.amdhsa_fp16_overflow 0
		.amdhsa_memory_ordered 1
		.amdhsa_forward_progress 1
		.amdhsa_inst_pref_size 6
		.amdhsa_round_robin_scheduling 0
		.amdhsa_exception_fp_ieee_invalid_op 0
		.amdhsa_exception_fp_denorm_src 0
		.amdhsa_exception_fp_ieee_div_zero 0
		.amdhsa_exception_fp_ieee_overflow 0
		.amdhsa_exception_fp_ieee_underflow 0
		.amdhsa_exception_fp_ieee_inexact 0
		.amdhsa_exception_int_div_zero 0
	.end_amdhsa_kernel
	.section	.text._ZN9rocsolver6v33100L11gemm_kernelI19rocblas_complex_numIdElS3_PKPS3_S4_S6_EEvT0_S7_S7_T1_bT2_lS7_S7_lbT3_lS7_S7_lS8_T4_lS7_S7_l,"axG",@progbits,_ZN9rocsolver6v33100L11gemm_kernelI19rocblas_complex_numIdElS3_PKPS3_S4_S6_EEvT0_S7_S7_T1_bT2_lS7_S7_lbT3_lS7_S7_lS8_T4_lS7_S7_l,comdat
.Lfunc_end49:
	.size	_ZN9rocsolver6v33100L11gemm_kernelI19rocblas_complex_numIdElS3_PKPS3_S4_S6_EEvT0_S7_S7_T1_bT2_lS7_S7_lbT3_lS7_S7_lS8_T4_lS7_S7_l, .Lfunc_end49-_ZN9rocsolver6v33100L11gemm_kernelI19rocblas_complex_numIdElS3_PKPS3_S4_S6_EEvT0_S7_S7_T1_bT2_lS7_S7_lbT3_lS7_S7_lS8_T4_lS7_S7_l
                                        ; -- End function
	.set _ZN9rocsolver6v33100L11gemm_kernelI19rocblas_complex_numIdElS3_PKPS3_S4_S6_EEvT0_S7_S7_T1_bT2_lS7_S7_lbT3_lS7_S7_lS8_T4_lS7_S7_l.num_vgpr, 22
	.set _ZN9rocsolver6v33100L11gemm_kernelI19rocblas_complex_numIdElS3_PKPS3_S4_S6_EEvT0_S7_S7_T1_bT2_lS7_S7_lbT3_lS7_S7_lS8_T4_lS7_S7_l.num_agpr, 0
	.set _ZN9rocsolver6v33100L11gemm_kernelI19rocblas_complex_numIdElS3_PKPS3_S4_S6_EEvT0_S7_S7_T1_bT2_lS7_S7_lbT3_lS7_S7_lS8_T4_lS7_S7_l.numbered_sgpr, 38
	.set _ZN9rocsolver6v33100L11gemm_kernelI19rocblas_complex_numIdElS3_PKPS3_S4_S6_EEvT0_S7_S7_T1_bT2_lS7_S7_lbT3_lS7_S7_lS8_T4_lS7_S7_l.num_named_barrier, 0
	.set _ZN9rocsolver6v33100L11gemm_kernelI19rocblas_complex_numIdElS3_PKPS3_S4_S6_EEvT0_S7_S7_T1_bT2_lS7_S7_lbT3_lS7_S7_lS8_T4_lS7_S7_l.private_seg_size, 0
	.set _ZN9rocsolver6v33100L11gemm_kernelI19rocblas_complex_numIdElS3_PKPS3_S4_S6_EEvT0_S7_S7_T1_bT2_lS7_S7_lbT3_lS7_S7_lS8_T4_lS7_S7_l.uses_vcc, 1
	.set _ZN9rocsolver6v33100L11gemm_kernelI19rocblas_complex_numIdElS3_PKPS3_S4_S6_EEvT0_S7_S7_T1_bT2_lS7_S7_lbT3_lS7_S7_lS8_T4_lS7_S7_l.uses_flat_scratch, 0
	.set _ZN9rocsolver6v33100L11gemm_kernelI19rocblas_complex_numIdElS3_PKPS3_S4_S6_EEvT0_S7_S7_T1_bT2_lS7_S7_lbT3_lS7_S7_lS8_T4_lS7_S7_l.has_dyn_sized_stack, 0
	.set _ZN9rocsolver6v33100L11gemm_kernelI19rocblas_complex_numIdElS3_PKPS3_S4_S6_EEvT0_S7_S7_T1_bT2_lS7_S7_lbT3_lS7_S7_lS8_T4_lS7_S7_l.has_recursion, 0
	.set _ZN9rocsolver6v33100L11gemm_kernelI19rocblas_complex_numIdElS3_PKPS3_S4_S6_EEvT0_S7_S7_T1_bT2_lS7_S7_lbT3_lS7_S7_lS8_T4_lS7_S7_l.has_indirect_call, 0
	.section	.AMDGPU.csdata,"",@progbits
; Kernel info:
; codeLenInByte = 728
; TotalNumSgprs: 40
; NumVgprs: 22
; ScratchSize: 0
; MemoryBound: 0
; FloatMode: 240
; IeeeMode: 1
; LDSByteSize: 0 bytes/workgroup (compile time only)
; SGPRBlocks: 0
; VGPRBlocks: 1
; NumSGPRsForWavesPerEU: 40
; NumVGPRsForWavesPerEU: 22
; NamedBarCnt: 0
; Occupancy: 16
; WaveLimiterHint : 1
; COMPUTE_PGM_RSRC2:SCRATCH_EN: 0
; COMPUTE_PGM_RSRC2:USER_SGPR: 2
; COMPUTE_PGM_RSRC2:TRAP_HANDLER: 0
; COMPUTE_PGM_RSRC2:TGID_X_EN: 1
; COMPUTE_PGM_RSRC2:TGID_Y_EN: 1
; COMPUTE_PGM_RSRC2:TGID_Z_EN: 1
; COMPUTE_PGM_RSRC2:TIDIG_COMP_CNT: 1
	.section	.text._ZN9rocsolver6v33100L16mfma_gemm_kernelI19rocblas_complex_numIdElPKS3_PKPS3_S8_S6_EEv18rocblas_operation_S9_T0_SA_SA_T1_T2_lSA_SA_lT3_lSA_SA_lSB_T4_lSA_SA_l,"axG",@progbits,_ZN9rocsolver6v33100L16mfma_gemm_kernelI19rocblas_complex_numIdElPKS3_PKPS3_S8_S6_EEv18rocblas_operation_S9_T0_SA_SA_T1_T2_lSA_SA_lT3_lSA_SA_lSB_T4_lSA_SA_l,comdat
	.globl	_ZN9rocsolver6v33100L16mfma_gemm_kernelI19rocblas_complex_numIdElPKS3_PKPS3_S8_S6_EEv18rocblas_operation_S9_T0_SA_SA_T1_T2_lSA_SA_lT3_lSA_SA_lSB_T4_lSA_SA_l ; -- Begin function _ZN9rocsolver6v33100L16mfma_gemm_kernelI19rocblas_complex_numIdElPKS3_PKPS3_S8_S6_EEv18rocblas_operation_S9_T0_SA_SA_T1_T2_lSA_SA_lT3_lSA_SA_lSB_T4_lSA_SA_l
	.p2align	8
	.type	_ZN9rocsolver6v33100L16mfma_gemm_kernelI19rocblas_complex_numIdElPKS3_PKPS3_S8_S6_EEv18rocblas_operation_S9_T0_SA_SA_T1_T2_lSA_SA_lT3_lSA_SA_lSB_T4_lSA_SA_l,@function
_ZN9rocsolver6v33100L16mfma_gemm_kernelI19rocblas_complex_numIdElPKS3_PKPS3_S8_S6_EEv18rocblas_operation_S9_T0_SA_SA_T1_T2_lSA_SA_lT3_lSA_SA_lSB_T4_lSA_SA_l: ; @_ZN9rocsolver6v33100L16mfma_gemm_kernelI19rocblas_complex_numIdElPKS3_PKPS3_S8_S6_EEv18rocblas_operation_S9_T0_SA_SA_T1_T2_lSA_SA_lT3_lSA_SA_lSB_T4_lSA_SA_l
; %bb.0:
	s_endpgm
	.section	.rodata,"a",@progbits
	.p2align	6, 0x0
	.amdhsa_kernel _ZN9rocsolver6v33100L16mfma_gemm_kernelI19rocblas_complex_numIdElPKS3_PKPS3_S8_S6_EEv18rocblas_operation_S9_T0_SA_SA_T1_T2_lSA_SA_lT3_lSA_SA_lSB_T4_lSA_SA_l
		.amdhsa_group_segment_fixed_size 0
		.amdhsa_private_segment_fixed_size 0
		.amdhsa_kernarg_size 168
		.amdhsa_user_sgpr_count 2
		.amdhsa_user_sgpr_dispatch_ptr 0
		.amdhsa_user_sgpr_queue_ptr 0
		.amdhsa_user_sgpr_kernarg_segment_ptr 1
		.amdhsa_user_sgpr_dispatch_id 0
		.amdhsa_user_sgpr_kernarg_preload_length 0
		.amdhsa_user_sgpr_kernarg_preload_offset 0
		.amdhsa_user_sgpr_private_segment_size 0
		.amdhsa_wavefront_size32 1
		.amdhsa_uses_dynamic_stack 0
		.amdhsa_enable_private_segment 0
		.amdhsa_system_sgpr_workgroup_id_x 1
		.amdhsa_system_sgpr_workgroup_id_y 0
		.amdhsa_system_sgpr_workgroup_id_z 0
		.amdhsa_system_sgpr_workgroup_info 0
		.amdhsa_system_vgpr_workitem_id 0
		.amdhsa_next_free_vgpr 1
		.amdhsa_next_free_sgpr 1
		.amdhsa_named_barrier_count 0
		.amdhsa_reserve_vcc 0
		.amdhsa_float_round_mode_32 0
		.amdhsa_float_round_mode_16_64 0
		.amdhsa_float_denorm_mode_32 3
		.amdhsa_float_denorm_mode_16_64 3
		.amdhsa_fp16_overflow 0
		.amdhsa_memory_ordered 1
		.amdhsa_forward_progress 1
		.amdhsa_inst_pref_size 1
		.amdhsa_round_robin_scheduling 0
		.amdhsa_exception_fp_ieee_invalid_op 0
		.amdhsa_exception_fp_denorm_src 0
		.amdhsa_exception_fp_ieee_div_zero 0
		.amdhsa_exception_fp_ieee_overflow 0
		.amdhsa_exception_fp_ieee_underflow 0
		.amdhsa_exception_fp_ieee_inexact 0
		.amdhsa_exception_int_div_zero 0
	.end_amdhsa_kernel
	.section	.text._ZN9rocsolver6v33100L16mfma_gemm_kernelI19rocblas_complex_numIdElPKS3_PKPS3_S8_S6_EEv18rocblas_operation_S9_T0_SA_SA_T1_T2_lSA_SA_lT3_lSA_SA_lSB_T4_lSA_SA_l,"axG",@progbits,_ZN9rocsolver6v33100L16mfma_gemm_kernelI19rocblas_complex_numIdElPKS3_PKPS3_S8_S6_EEv18rocblas_operation_S9_T0_SA_SA_T1_T2_lSA_SA_lT3_lSA_SA_lSB_T4_lSA_SA_l,comdat
.Lfunc_end50:
	.size	_ZN9rocsolver6v33100L16mfma_gemm_kernelI19rocblas_complex_numIdElPKS3_PKPS3_S8_S6_EEv18rocblas_operation_S9_T0_SA_SA_T1_T2_lSA_SA_lT3_lSA_SA_lSB_T4_lSA_SA_l, .Lfunc_end50-_ZN9rocsolver6v33100L16mfma_gemm_kernelI19rocblas_complex_numIdElPKS3_PKPS3_S8_S6_EEv18rocblas_operation_S9_T0_SA_SA_T1_T2_lSA_SA_lT3_lSA_SA_lSB_T4_lSA_SA_l
                                        ; -- End function
	.set _ZN9rocsolver6v33100L16mfma_gemm_kernelI19rocblas_complex_numIdElPKS3_PKPS3_S8_S6_EEv18rocblas_operation_S9_T0_SA_SA_T1_T2_lSA_SA_lT3_lSA_SA_lSB_T4_lSA_SA_l.num_vgpr, 0
	.set _ZN9rocsolver6v33100L16mfma_gemm_kernelI19rocblas_complex_numIdElPKS3_PKPS3_S8_S6_EEv18rocblas_operation_S9_T0_SA_SA_T1_T2_lSA_SA_lT3_lSA_SA_lSB_T4_lSA_SA_l.num_agpr, 0
	.set _ZN9rocsolver6v33100L16mfma_gemm_kernelI19rocblas_complex_numIdElPKS3_PKPS3_S8_S6_EEv18rocblas_operation_S9_T0_SA_SA_T1_T2_lSA_SA_lT3_lSA_SA_lSB_T4_lSA_SA_l.numbered_sgpr, 0
	.set _ZN9rocsolver6v33100L16mfma_gemm_kernelI19rocblas_complex_numIdElPKS3_PKPS3_S8_S6_EEv18rocblas_operation_S9_T0_SA_SA_T1_T2_lSA_SA_lT3_lSA_SA_lSB_T4_lSA_SA_l.num_named_barrier, 0
	.set _ZN9rocsolver6v33100L16mfma_gemm_kernelI19rocblas_complex_numIdElPKS3_PKPS3_S8_S6_EEv18rocblas_operation_S9_T0_SA_SA_T1_T2_lSA_SA_lT3_lSA_SA_lSB_T4_lSA_SA_l.private_seg_size, 0
	.set _ZN9rocsolver6v33100L16mfma_gemm_kernelI19rocblas_complex_numIdElPKS3_PKPS3_S8_S6_EEv18rocblas_operation_S9_T0_SA_SA_T1_T2_lSA_SA_lT3_lSA_SA_lSB_T4_lSA_SA_l.uses_vcc, 0
	.set _ZN9rocsolver6v33100L16mfma_gemm_kernelI19rocblas_complex_numIdElPKS3_PKPS3_S8_S6_EEv18rocblas_operation_S9_T0_SA_SA_T1_T2_lSA_SA_lT3_lSA_SA_lSB_T4_lSA_SA_l.uses_flat_scratch, 0
	.set _ZN9rocsolver6v33100L16mfma_gemm_kernelI19rocblas_complex_numIdElPKS3_PKPS3_S8_S6_EEv18rocblas_operation_S9_T0_SA_SA_T1_T2_lSA_SA_lT3_lSA_SA_lSB_T4_lSA_SA_l.has_dyn_sized_stack, 0
	.set _ZN9rocsolver6v33100L16mfma_gemm_kernelI19rocblas_complex_numIdElPKS3_PKPS3_S8_S6_EEv18rocblas_operation_S9_T0_SA_SA_T1_T2_lSA_SA_lT3_lSA_SA_lSB_T4_lSA_SA_l.has_recursion, 0
	.set _ZN9rocsolver6v33100L16mfma_gemm_kernelI19rocblas_complex_numIdElPKS3_PKPS3_S8_S6_EEv18rocblas_operation_S9_T0_SA_SA_T1_T2_lSA_SA_lT3_lSA_SA_lSB_T4_lSA_SA_l.has_indirect_call, 0
	.section	.AMDGPU.csdata,"",@progbits
; Kernel info:
; codeLenInByte = 4
; TotalNumSgprs: 0
; NumVgprs: 0
; ScratchSize: 0
; MemoryBound: 0
; FloatMode: 240
; IeeeMode: 1
; LDSByteSize: 0 bytes/workgroup (compile time only)
; SGPRBlocks: 0
; VGPRBlocks: 0
; NumSGPRsForWavesPerEU: 1
; NumVGPRsForWavesPerEU: 1
; NamedBarCnt: 0
; Occupancy: 16
; WaveLimiterHint : 0
; COMPUTE_PGM_RSRC2:SCRATCH_EN: 0
; COMPUTE_PGM_RSRC2:USER_SGPR: 2
; COMPUTE_PGM_RSRC2:TRAP_HANDLER: 0
; COMPUTE_PGM_RSRC2:TGID_X_EN: 1
; COMPUTE_PGM_RSRC2:TGID_Y_EN: 0
; COMPUTE_PGM_RSRC2:TGID_Z_EN: 0
; COMPUTE_PGM_RSRC2:TIDIG_COMP_CNT: 0
	.section	.text._ZN9rocsolver6v33100L16mfma_gemm_kernelI19rocblas_complex_numIdElS3_PKPS3_S6_S4_EEv18rocblas_operation_S7_T0_S8_S8_T1_T2_lS8_S8_lT3_lS8_S8_lS9_T4_lS8_S8_l,"axG",@progbits,_ZN9rocsolver6v33100L16mfma_gemm_kernelI19rocblas_complex_numIdElS3_PKPS3_S6_S4_EEv18rocblas_operation_S7_T0_S8_S8_T1_T2_lS8_S8_lT3_lS8_S8_lS9_T4_lS8_S8_l,comdat
	.globl	_ZN9rocsolver6v33100L16mfma_gemm_kernelI19rocblas_complex_numIdElS3_PKPS3_S6_S4_EEv18rocblas_operation_S7_T0_S8_S8_T1_T2_lS8_S8_lT3_lS8_S8_lS9_T4_lS8_S8_l ; -- Begin function _ZN9rocsolver6v33100L16mfma_gemm_kernelI19rocblas_complex_numIdElS3_PKPS3_S6_S4_EEv18rocblas_operation_S7_T0_S8_S8_T1_T2_lS8_S8_lT3_lS8_S8_lS9_T4_lS8_S8_l
	.p2align	8
	.type	_ZN9rocsolver6v33100L16mfma_gemm_kernelI19rocblas_complex_numIdElS3_PKPS3_S6_S4_EEv18rocblas_operation_S7_T0_S8_S8_T1_T2_lS8_S8_lT3_lS8_S8_lS9_T4_lS8_S8_l,@function
_ZN9rocsolver6v33100L16mfma_gemm_kernelI19rocblas_complex_numIdElS3_PKPS3_S6_S4_EEv18rocblas_operation_S7_T0_S8_S8_T1_T2_lS8_S8_lT3_lS8_S8_lS9_T4_lS8_S8_l: ; @_ZN9rocsolver6v33100L16mfma_gemm_kernelI19rocblas_complex_numIdElS3_PKPS3_S6_S4_EEv18rocblas_operation_S7_T0_S8_S8_T1_T2_lS8_S8_lT3_lS8_S8_lS9_T4_lS8_S8_l
; %bb.0:
	s_endpgm
	.section	.rodata,"a",@progbits
	.p2align	6, 0x0
	.amdhsa_kernel _ZN9rocsolver6v33100L16mfma_gemm_kernelI19rocblas_complex_numIdElS3_PKPS3_S6_S4_EEv18rocblas_operation_S7_T0_S8_S8_T1_T2_lS8_S8_lT3_lS8_S8_lS9_T4_lS8_S8_l
		.amdhsa_group_segment_fixed_size 0
		.amdhsa_private_segment_fixed_size 0
		.amdhsa_kernarg_size 184
		.amdhsa_user_sgpr_count 2
		.amdhsa_user_sgpr_dispatch_ptr 0
		.amdhsa_user_sgpr_queue_ptr 0
		.amdhsa_user_sgpr_kernarg_segment_ptr 1
		.amdhsa_user_sgpr_dispatch_id 0
		.amdhsa_user_sgpr_kernarg_preload_length 0
		.amdhsa_user_sgpr_kernarg_preload_offset 0
		.amdhsa_user_sgpr_private_segment_size 0
		.amdhsa_wavefront_size32 1
		.amdhsa_uses_dynamic_stack 0
		.amdhsa_enable_private_segment 0
		.amdhsa_system_sgpr_workgroup_id_x 1
		.amdhsa_system_sgpr_workgroup_id_y 0
		.amdhsa_system_sgpr_workgroup_id_z 0
		.amdhsa_system_sgpr_workgroup_info 0
		.amdhsa_system_vgpr_workitem_id 0
		.amdhsa_next_free_vgpr 1
		.amdhsa_next_free_sgpr 1
		.amdhsa_named_barrier_count 0
		.amdhsa_reserve_vcc 0
		.amdhsa_float_round_mode_32 0
		.amdhsa_float_round_mode_16_64 0
		.amdhsa_float_denorm_mode_32 3
		.amdhsa_float_denorm_mode_16_64 3
		.amdhsa_fp16_overflow 0
		.amdhsa_memory_ordered 1
		.amdhsa_forward_progress 1
		.amdhsa_inst_pref_size 1
		.amdhsa_round_robin_scheduling 0
		.amdhsa_exception_fp_ieee_invalid_op 0
		.amdhsa_exception_fp_denorm_src 0
		.amdhsa_exception_fp_ieee_div_zero 0
		.amdhsa_exception_fp_ieee_overflow 0
		.amdhsa_exception_fp_ieee_underflow 0
		.amdhsa_exception_fp_ieee_inexact 0
		.amdhsa_exception_int_div_zero 0
	.end_amdhsa_kernel
	.section	.text._ZN9rocsolver6v33100L16mfma_gemm_kernelI19rocblas_complex_numIdElS3_PKPS3_S6_S4_EEv18rocblas_operation_S7_T0_S8_S8_T1_T2_lS8_S8_lT3_lS8_S8_lS9_T4_lS8_S8_l,"axG",@progbits,_ZN9rocsolver6v33100L16mfma_gemm_kernelI19rocblas_complex_numIdElS3_PKPS3_S6_S4_EEv18rocblas_operation_S7_T0_S8_S8_T1_T2_lS8_S8_lT3_lS8_S8_lS9_T4_lS8_S8_l,comdat
.Lfunc_end51:
	.size	_ZN9rocsolver6v33100L16mfma_gemm_kernelI19rocblas_complex_numIdElS3_PKPS3_S6_S4_EEv18rocblas_operation_S7_T0_S8_S8_T1_T2_lS8_S8_lT3_lS8_S8_lS9_T4_lS8_S8_l, .Lfunc_end51-_ZN9rocsolver6v33100L16mfma_gemm_kernelI19rocblas_complex_numIdElS3_PKPS3_S6_S4_EEv18rocblas_operation_S7_T0_S8_S8_T1_T2_lS8_S8_lT3_lS8_S8_lS9_T4_lS8_S8_l
                                        ; -- End function
	.set _ZN9rocsolver6v33100L16mfma_gemm_kernelI19rocblas_complex_numIdElS3_PKPS3_S6_S4_EEv18rocblas_operation_S7_T0_S8_S8_T1_T2_lS8_S8_lT3_lS8_S8_lS9_T4_lS8_S8_l.num_vgpr, 0
	.set _ZN9rocsolver6v33100L16mfma_gemm_kernelI19rocblas_complex_numIdElS3_PKPS3_S6_S4_EEv18rocblas_operation_S7_T0_S8_S8_T1_T2_lS8_S8_lT3_lS8_S8_lS9_T4_lS8_S8_l.num_agpr, 0
	.set _ZN9rocsolver6v33100L16mfma_gemm_kernelI19rocblas_complex_numIdElS3_PKPS3_S6_S4_EEv18rocblas_operation_S7_T0_S8_S8_T1_T2_lS8_S8_lT3_lS8_S8_lS9_T4_lS8_S8_l.numbered_sgpr, 0
	.set _ZN9rocsolver6v33100L16mfma_gemm_kernelI19rocblas_complex_numIdElS3_PKPS3_S6_S4_EEv18rocblas_operation_S7_T0_S8_S8_T1_T2_lS8_S8_lT3_lS8_S8_lS9_T4_lS8_S8_l.num_named_barrier, 0
	.set _ZN9rocsolver6v33100L16mfma_gemm_kernelI19rocblas_complex_numIdElS3_PKPS3_S6_S4_EEv18rocblas_operation_S7_T0_S8_S8_T1_T2_lS8_S8_lT3_lS8_S8_lS9_T4_lS8_S8_l.private_seg_size, 0
	.set _ZN9rocsolver6v33100L16mfma_gemm_kernelI19rocblas_complex_numIdElS3_PKPS3_S6_S4_EEv18rocblas_operation_S7_T0_S8_S8_T1_T2_lS8_S8_lT3_lS8_S8_lS9_T4_lS8_S8_l.uses_vcc, 0
	.set _ZN9rocsolver6v33100L16mfma_gemm_kernelI19rocblas_complex_numIdElS3_PKPS3_S6_S4_EEv18rocblas_operation_S7_T0_S8_S8_T1_T2_lS8_S8_lT3_lS8_S8_lS9_T4_lS8_S8_l.uses_flat_scratch, 0
	.set _ZN9rocsolver6v33100L16mfma_gemm_kernelI19rocblas_complex_numIdElS3_PKPS3_S6_S4_EEv18rocblas_operation_S7_T0_S8_S8_T1_T2_lS8_S8_lT3_lS8_S8_lS9_T4_lS8_S8_l.has_dyn_sized_stack, 0
	.set _ZN9rocsolver6v33100L16mfma_gemm_kernelI19rocblas_complex_numIdElS3_PKPS3_S6_S4_EEv18rocblas_operation_S7_T0_S8_S8_T1_T2_lS8_S8_lT3_lS8_S8_lS9_T4_lS8_S8_l.has_recursion, 0
	.set _ZN9rocsolver6v33100L16mfma_gemm_kernelI19rocblas_complex_numIdElS3_PKPS3_S6_S4_EEv18rocblas_operation_S7_T0_S8_S8_T1_T2_lS8_S8_lT3_lS8_S8_lS9_T4_lS8_S8_l.has_indirect_call, 0
	.section	.AMDGPU.csdata,"",@progbits
; Kernel info:
; codeLenInByte = 4
; TotalNumSgprs: 0
; NumVgprs: 0
; ScratchSize: 0
; MemoryBound: 0
; FloatMode: 240
; IeeeMode: 1
; LDSByteSize: 0 bytes/workgroup (compile time only)
; SGPRBlocks: 0
; VGPRBlocks: 0
; NumSGPRsForWavesPerEU: 1
; NumVGPRsForWavesPerEU: 1
; NamedBarCnt: 0
; Occupancy: 16
; WaveLimiterHint : 0
; COMPUTE_PGM_RSRC2:SCRATCH_EN: 0
; COMPUTE_PGM_RSRC2:USER_SGPR: 2
; COMPUTE_PGM_RSRC2:TRAP_HANDLER: 0
; COMPUTE_PGM_RSRC2:TGID_X_EN: 1
; COMPUTE_PGM_RSRC2:TGID_Y_EN: 0
; COMPUTE_PGM_RSRC2:TGID_Z_EN: 0
; COMPUTE_PGM_RSRC2:TIDIG_COMP_CNT: 0
	.section	.text._ZN9rocsolver6v33100L11gemm_kernelI19rocblas_complex_numIdElPKS3_PKPS3_S8_S6_EEvT0_S9_S9_T1_bT2_lS9_S9_lbT3_lS9_S9_lSA_T4_lS9_S9_l,"axG",@progbits,_ZN9rocsolver6v33100L11gemm_kernelI19rocblas_complex_numIdElPKS3_PKPS3_S8_S6_EEvT0_S9_S9_T1_bT2_lS9_S9_lbT3_lS9_S9_lSA_T4_lS9_S9_l,comdat
	.globl	_ZN9rocsolver6v33100L11gemm_kernelI19rocblas_complex_numIdElPKS3_PKPS3_S8_S6_EEvT0_S9_S9_T1_bT2_lS9_S9_lbT3_lS9_S9_lSA_T4_lS9_S9_l ; -- Begin function _ZN9rocsolver6v33100L11gemm_kernelI19rocblas_complex_numIdElPKS3_PKPS3_S8_S6_EEvT0_S9_S9_T1_bT2_lS9_S9_lbT3_lS9_S9_lSA_T4_lS9_S9_l
	.p2align	8
	.type	_ZN9rocsolver6v33100L11gemm_kernelI19rocblas_complex_numIdElPKS3_PKPS3_S8_S6_EEvT0_S9_S9_T1_bT2_lS9_S9_lbT3_lS9_S9_lSA_T4_lS9_S9_l,@function
_ZN9rocsolver6v33100L11gemm_kernelI19rocblas_complex_numIdElPKS3_PKPS3_S8_S6_EEvT0_S9_S9_T1_bT2_lS9_S9_lbT3_lS9_S9_lSA_T4_lS9_S9_l: ; @_ZN9rocsolver6v33100L11gemm_kernelI19rocblas_complex_numIdElPKS3_PKPS3_S8_S6_EEvT0_S9_S9_T1_bT2_lS9_S9_lbT3_lS9_S9_lSA_T4_lS9_S9_l
; %bb.0:
	s_load_b32 s2, s[0:1], 0xbc
	s_bfe_u32 s5, ttmp6, 0x40010
	s_bfe_u32 s16, ttmp6, 0x4000c
	s_and_b32 s4, ttmp7, 0xffff
	s_add_co_i32 s5, s5, 1
	s_add_co_i32 s16, s16, 1
	s_bfe_u32 s6, ttmp6, 0x40004
	s_and_b32 s7, ttmp6, 15
	s_mul_i32 s5, s4, s5
	s_mul_i32 s16, ttmp9, s16
	s_getreg_b32 s3, hwreg(HW_REG_IB_STS2, 6, 4)
	v_mov_b32_e32 v5, 0
	v_and_b32_e32 v4, 0x3ff, v0
	s_add_co_i32 s6, s6, s5
	s_add_co_i32 s7, s7, s16
	s_load_b256 s[8:15], s[0:1], 0x0
	s_mov_b32 s35, 0
	s_wait_kmcnt 0x0
	s_lshr_b32 s5, s2, 16
	s_and_b32 s2, s2, 0xffff
	s_cmp_eq_u32 s3, 0
	s_cselect_b32 s7, ttmp9, s7
	s_delay_alu instid0(SALU_CYCLE_1)
	v_mad_nc_u64_u32 v[2:3], s2, s7, v[4:5]
	v_bfe_u32 v4, v0, 10, 10
	s_cselect_b32 s2, s4, s6
	s_delay_alu instid0(VALU_DEP_1) | instid1(SALU_CYCLE_1)
	v_mad_nc_u64_u32 v[0:1], s5, s2, v[4:5]
	s_delay_alu instid0(VALU_DEP_3) | instskip(NEXT) | instid1(VALU_DEP_2)
	v_cmp_gt_i64_e32 vcc_lo, s[8:9], v[2:3]
	v_cmp_gt_i64_e64 s2, s[10:11], v[0:1]
	s_and_b32 s2, vcc_lo, s2
	s_delay_alu instid0(SALU_CYCLE_1)
	s_and_saveexec_b32 s4, s2
	s_cbranch_execz .LBB52_6
; %bb.1:
	s_clause 0x1
	s_load_b256 s[4:11], s[0:1], 0x80
	s_load_b128 s[36:39], s[0:1], 0xa0
	s_bfe_u32 s2, ttmp6, 0x40014
	s_lshr_b32 s16, ttmp7, 16
	s_add_co_i32 s2, s2, 1
	v_cmp_lt_i64_e64 s17, s[12:13], 1
	s_mul_i32 s2, s16, s2
	s_bfe_u32 s18, ttmp6, 0x40008
	s_delay_alu instid0(SALU_CYCLE_1)
	s_add_co_i32 s18, s18, s2
	s_cmp_eq_u32 s3, 0
	s_cselect_b32 s34, s16, s18
	s_and_b32 vcc_lo, exec_lo, s17
	s_cbranch_vccnz .LBB52_4
; %bb.2:
	s_clause 0x1
	s_load_b256 s[16:23], s[0:1], 0x28
	s_load_b256 s[24:31], s[0:1], 0x58
	s_wait_kmcnt 0x0
	v_mul_u64_e32 v[4:5], s[20:21], v[2:3]
	v_mul_u64_e32 v[6:7], s[30:31], v[0:1]
	s_clause 0x1
	s_load_b32 s30, s[0:1], 0x20
	s_load_b32 s31, s[0:1], 0x50
	s_load_b64 s[2:3], s[16:17], s34 offset:0x0 scale_offset
	s_load_b64 s[20:21], s[24:25], s34 offset:0x0 scale_offset
	s_wait_kmcnt 0x0
	s_bitcmp1_b32 s30, 0
	s_cselect_b32 vcc_lo, -1, 0
	s_bitcmp1_b32 s31, 0
	s_cselect_b32 s0, -1, 0
	s_lshl_b64 s[16:17], s[18:19], 4
	s_lshl_b64 s[18:19], s[26:27], 4
	s_add_nc_u64 s[2:3], s[2:3], s[16:17]
	s_add_nc_u64 s[16:17], s[20:21], s[18:19]
	s_delay_alu instid0(VALU_DEP_2) | instskip(NEXT) | instid1(VALU_DEP_2)
	v_lshl_add_u64 v[8:9], v[4:5], 4, s[2:3]
	v_lshl_add_u64 v[6:7], v[6:7], 4, s[16:17]
	v_mov_b64_e32 v[4:5], 0
	s_lshl_b64 s[2:3], s[22:23], 4
	s_lshl_b64 s[16:17], s[28:29], 4
	v_add_nc_u64_e32 v[8:9], 8, v[8:9]
	v_add_nc_u64_e32 v[10:11], 8, v[6:7]
	v_mov_b64_e32 v[6:7], 0
.LBB52_3:                               ; =>This Inner Loop Header: Depth=1
	flat_load_b128 v[12:15], v[8:9] offset:-8
	flat_load_b128 v[16:19], v[10:11] offset:-8
	s_wait_xcnt 0x1
	v_add_nc_u64_e32 v[8:9], s[2:3], v[8:9]
	s_wait_xcnt 0x0
	v_add_nc_u64_e32 v[10:11], s[16:17], v[10:11]
	s_add_nc_u64 s[12:13], s[12:13], -1
	s_delay_alu instid0(SALU_CYCLE_1) | instskip(SKIP_4) | instid1(VALU_DEP_2)
	s_cmp_eq_u64 s[12:13], 0
	s_wait_loadcnt_dscnt 0x101
	v_xor_b32_e32 v20, 0x80000000, v15
	s_wait_loadcnt_dscnt 0x0
	v_xor_b32_e32 v21, 0x80000000, v19
	v_cndmask_b32_e32 v15, v15, v20, vcc_lo
	s_delay_alu instid0(VALU_DEP_2) | instskip(NEXT) | instid1(VALU_DEP_1)
	v_cndmask_b32_e64 v19, v19, v21, s0
	v_mul_f64_e32 v[20:21], v[14:15], v[18:19]
	v_mul_f64_e32 v[14:15], v[14:15], v[16:17]
	s_delay_alu instid0(VALU_DEP_2) | instskip(NEXT) | instid1(VALU_DEP_2)
	v_fma_f64 v[16:17], v[12:13], v[16:17], -v[20:21]
	v_fmac_f64_e32 v[14:15], v[12:13], v[18:19]
	s_delay_alu instid0(VALU_DEP_2) | instskip(NEXT) | instid1(VALU_DEP_2)
	v_add_f64_e32 v[6:7], v[6:7], v[16:17]
	v_add_f64_e32 v[4:5], v[4:5], v[14:15]
	s_cbranch_scc0 .LBB52_3
	s_branch .LBB52_5
.LBB52_4:
	v_mov_b64_e32 v[4:5], 0
	v_mov_b64_e32 v[6:7], 0
.LBB52_5:
	s_wait_kmcnt 0x0
	v_mul_u64_e32 v[2:3], s[10:11], v[2:3]
	v_mul_u64_e32 v[0:1], s[36:37], v[0:1]
	s_load_b128 s[16:19], s[14:15], 0x0
	s_load_b128 s[0:3], s[4:5], 0x0
	s_wait_xcnt 0x0
	s_mul_u64 s[4:5], s[38:39], s[34:35]
	s_lshl_b64 s[8:9], s[8:9], 4
	s_lshl_b64 s[4:5], s[4:5], 4
	s_delay_alu instid0(SALU_CYCLE_1) | instskip(NEXT) | instid1(SALU_CYCLE_1)
	s_add_nc_u64 s[4:5], s[6:7], s[4:5]
	s_add_nc_u64 s[4:5], s[4:5], s[8:9]
	s_wait_kmcnt 0x0
	s_delay_alu instid0(VALU_DEP_3) | instskip(SKIP_1) | instid1(VALU_DEP_4)
	v_mul_f64_e32 v[10:11], s[18:19], v[4:5]
	v_mul_f64_e32 v[4:5], s[16:17], v[4:5]
	v_lshl_add_u64 v[2:3], v[2:3], 4, s[4:5]
	s_delay_alu instid0(VALU_DEP_1)
	v_lshl_add_u64 v[8:9], v[0:1], 4, v[2:3]
	global_load_b128 v[0:3], v[8:9], off
	v_fma_f64 v[10:11], s[16:17], v[6:7], -v[10:11]
	v_fmac_f64_e32 v[4:5], s[18:19], v[6:7]
	s_wait_loadcnt 0x0
	v_mul_f64_e32 v[12:13], s[2:3], v[2:3]
	v_mul_f64_e32 v[2:3], s[0:1], v[2:3]
	s_delay_alu instid0(VALU_DEP_2) | instskip(NEXT) | instid1(VALU_DEP_2)
	v_fma_f64 v[6:7], s[0:1], v[0:1], -v[12:13]
	v_fmac_f64_e32 v[2:3], s[2:3], v[0:1]
	s_delay_alu instid0(VALU_DEP_2) | instskip(NEXT) | instid1(VALU_DEP_2)
	v_add_f64_e32 v[0:1], v[10:11], v[6:7]
	v_add_f64_e32 v[2:3], v[4:5], v[2:3]
	global_store_b128 v[8:9], v[0:3], off
.LBB52_6:
	s_endpgm
	.section	.rodata,"a",@progbits
	.p2align	6, 0x0
	.amdhsa_kernel _ZN9rocsolver6v33100L11gemm_kernelI19rocblas_complex_numIdElPKS3_PKPS3_S8_S6_EEvT0_S9_S9_T1_bT2_lS9_S9_lbT3_lS9_S9_lSA_T4_lS9_S9_l
		.amdhsa_group_segment_fixed_size 0
		.amdhsa_private_segment_fixed_size 0
		.amdhsa_kernarg_size 432
		.amdhsa_user_sgpr_count 2
		.amdhsa_user_sgpr_dispatch_ptr 0
		.amdhsa_user_sgpr_queue_ptr 0
		.amdhsa_user_sgpr_kernarg_segment_ptr 1
		.amdhsa_user_sgpr_dispatch_id 0
		.amdhsa_user_sgpr_kernarg_preload_length 0
		.amdhsa_user_sgpr_kernarg_preload_offset 0
		.amdhsa_user_sgpr_private_segment_size 0
		.amdhsa_wavefront_size32 1
		.amdhsa_uses_dynamic_stack 0
		.amdhsa_enable_private_segment 0
		.amdhsa_system_sgpr_workgroup_id_x 1
		.amdhsa_system_sgpr_workgroup_id_y 1
		.amdhsa_system_sgpr_workgroup_id_z 1
		.amdhsa_system_sgpr_workgroup_info 0
		.amdhsa_system_vgpr_workitem_id 1
		.amdhsa_next_free_vgpr 22
		.amdhsa_next_free_sgpr 40
		.amdhsa_named_barrier_count 0
		.amdhsa_reserve_vcc 1
		.amdhsa_float_round_mode_32 0
		.amdhsa_float_round_mode_16_64 0
		.amdhsa_float_denorm_mode_32 3
		.amdhsa_float_denorm_mode_16_64 3
		.amdhsa_fp16_overflow 0
		.amdhsa_memory_ordered 1
		.amdhsa_forward_progress 1
		.amdhsa_inst_pref_size 6
		.amdhsa_round_robin_scheduling 0
		.amdhsa_exception_fp_ieee_invalid_op 0
		.amdhsa_exception_fp_denorm_src 0
		.amdhsa_exception_fp_ieee_div_zero 0
		.amdhsa_exception_fp_ieee_overflow 0
		.amdhsa_exception_fp_ieee_underflow 0
		.amdhsa_exception_fp_ieee_inexact 0
		.amdhsa_exception_int_div_zero 0
	.end_amdhsa_kernel
	.section	.text._ZN9rocsolver6v33100L11gemm_kernelI19rocblas_complex_numIdElPKS3_PKPS3_S8_S6_EEvT0_S9_S9_T1_bT2_lS9_S9_lbT3_lS9_S9_lSA_T4_lS9_S9_l,"axG",@progbits,_ZN9rocsolver6v33100L11gemm_kernelI19rocblas_complex_numIdElPKS3_PKPS3_S8_S6_EEvT0_S9_S9_T1_bT2_lS9_S9_lbT3_lS9_S9_lSA_T4_lS9_S9_l,comdat
.Lfunc_end52:
	.size	_ZN9rocsolver6v33100L11gemm_kernelI19rocblas_complex_numIdElPKS3_PKPS3_S8_S6_EEvT0_S9_S9_T1_bT2_lS9_S9_lbT3_lS9_S9_lSA_T4_lS9_S9_l, .Lfunc_end52-_ZN9rocsolver6v33100L11gemm_kernelI19rocblas_complex_numIdElPKS3_PKPS3_S8_S6_EEvT0_S9_S9_T1_bT2_lS9_S9_lbT3_lS9_S9_lSA_T4_lS9_S9_l
                                        ; -- End function
	.set _ZN9rocsolver6v33100L11gemm_kernelI19rocblas_complex_numIdElPKS3_PKPS3_S8_S6_EEvT0_S9_S9_T1_bT2_lS9_S9_lbT3_lS9_S9_lSA_T4_lS9_S9_l.num_vgpr, 22
	.set _ZN9rocsolver6v33100L11gemm_kernelI19rocblas_complex_numIdElPKS3_PKPS3_S8_S6_EEvT0_S9_S9_T1_bT2_lS9_S9_lbT3_lS9_S9_lSA_T4_lS9_S9_l.num_agpr, 0
	.set _ZN9rocsolver6v33100L11gemm_kernelI19rocblas_complex_numIdElPKS3_PKPS3_S8_S6_EEvT0_S9_S9_T1_bT2_lS9_S9_lbT3_lS9_S9_lSA_T4_lS9_S9_l.numbered_sgpr, 40
	.set _ZN9rocsolver6v33100L11gemm_kernelI19rocblas_complex_numIdElPKS3_PKPS3_S8_S6_EEvT0_S9_S9_T1_bT2_lS9_S9_lbT3_lS9_S9_lSA_T4_lS9_S9_l.num_named_barrier, 0
	.set _ZN9rocsolver6v33100L11gemm_kernelI19rocblas_complex_numIdElPKS3_PKPS3_S8_S6_EEvT0_S9_S9_T1_bT2_lS9_S9_lbT3_lS9_S9_lSA_T4_lS9_S9_l.private_seg_size, 0
	.set _ZN9rocsolver6v33100L11gemm_kernelI19rocblas_complex_numIdElPKS3_PKPS3_S8_S6_EEvT0_S9_S9_T1_bT2_lS9_S9_lbT3_lS9_S9_lSA_T4_lS9_S9_l.uses_vcc, 1
	.set _ZN9rocsolver6v33100L11gemm_kernelI19rocblas_complex_numIdElPKS3_PKPS3_S8_S6_EEvT0_S9_S9_T1_bT2_lS9_S9_lbT3_lS9_S9_lSA_T4_lS9_S9_l.uses_flat_scratch, 0
	.set _ZN9rocsolver6v33100L11gemm_kernelI19rocblas_complex_numIdElPKS3_PKPS3_S8_S6_EEvT0_S9_S9_T1_bT2_lS9_S9_lbT3_lS9_S9_lSA_T4_lS9_S9_l.has_dyn_sized_stack, 0
	.set _ZN9rocsolver6v33100L11gemm_kernelI19rocblas_complex_numIdElPKS3_PKPS3_S8_S6_EEvT0_S9_S9_T1_bT2_lS9_S9_lbT3_lS9_S9_lSA_T4_lS9_S9_l.has_recursion, 0
	.set _ZN9rocsolver6v33100L11gemm_kernelI19rocblas_complex_numIdElPKS3_PKPS3_S8_S6_EEvT0_S9_S9_T1_bT2_lS9_S9_lbT3_lS9_S9_lSA_T4_lS9_S9_l.has_indirect_call, 0
	.section	.AMDGPU.csdata,"",@progbits
; Kernel info:
; codeLenInByte = 732
; TotalNumSgprs: 42
; NumVgprs: 22
; ScratchSize: 0
; MemoryBound: 0
; FloatMode: 240
; IeeeMode: 1
; LDSByteSize: 0 bytes/workgroup (compile time only)
; SGPRBlocks: 0
; VGPRBlocks: 1
; NumSGPRsForWavesPerEU: 42
; NumVGPRsForWavesPerEU: 22
; NamedBarCnt: 0
; Occupancy: 16
; WaveLimiterHint : 0
; COMPUTE_PGM_RSRC2:SCRATCH_EN: 0
; COMPUTE_PGM_RSRC2:USER_SGPR: 2
; COMPUTE_PGM_RSRC2:TRAP_HANDLER: 0
; COMPUTE_PGM_RSRC2:TGID_X_EN: 1
; COMPUTE_PGM_RSRC2:TGID_Y_EN: 1
; COMPUTE_PGM_RSRC2:TGID_Z_EN: 1
; COMPUTE_PGM_RSRC2:TIDIG_COMP_CNT: 1
	.section	.text._ZN9rocsolver6v33100L11gemm_kernelI19rocblas_complex_numIdElS3_PKPS3_S6_S4_EEvT0_S7_S7_T1_bT2_lS7_S7_lbT3_lS7_S7_lS8_T4_lS7_S7_l,"axG",@progbits,_ZN9rocsolver6v33100L11gemm_kernelI19rocblas_complex_numIdElS3_PKPS3_S6_S4_EEvT0_S7_S7_T1_bT2_lS7_S7_lbT3_lS7_S7_lS8_T4_lS7_S7_l,comdat
	.globl	_ZN9rocsolver6v33100L11gemm_kernelI19rocblas_complex_numIdElS3_PKPS3_S6_S4_EEvT0_S7_S7_T1_bT2_lS7_S7_lbT3_lS7_S7_lS8_T4_lS7_S7_l ; -- Begin function _ZN9rocsolver6v33100L11gemm_kernelI19rocblas_complex_numIdElS3_PKPS3_S6_S4_EEvT0_S7_S7_T1_bT2_lS7_S7_lbT3_lS7_S7_lS8_T4_lS7_S7_l
	.p2align	8
	.type	_ZN9rocsolver6v33100L11gemm_kernelI19rocblas_complex_numIdElS3_PKPS3_S6_S4_EEvT0_S7_S7_T1_bT2_lS7_S7_lbT3_lS7_S7_lS8_T4_lS7_S7_l,@function
_ZN9rocsolver6v33100L11gemm_kernelI19rocblas_complex_numIdElS3_PKPS3_S6_S4_EEvT0_S7_S7_T1_bT2_lS7_S7_lbT3_lS7_S7_lS8_T4_lS7_S7_l: ; @_ZN9rocsolver6v33100L11gemm_kernelI19rocblas_complex_numIdElS3_PKPS3_S6_S4_EEvT0_S7_S7_T1_bT2_lS7_S7_lbT3_lS7_S7_lS8_T4_lS7_S7_l
; %bb.0:
	s_load_b32 s2, s[0:1], 0xcc
	s_bfe_u32 s12, ttmp6, 0x40010
	s_bfe_u32 s15, ttmp6, 0x4000c
	s_and_b32 s3, ttmp7, 0xffff
	s_add_co_i32 s12, s12, 1
	s_add_co_i32 s15, s15, 1
	s_bfe_u32 s13, ttmp6, 0x40004
	s_and_b32 s14, ttmp6, 15
	s_mul_i32 s12, s3, s12
	s_mul_i32 s15, ttmp9, s15
	s_getreg_b32 s20, hwreg(HW_REG_IB_STS2, 6, 4)
	v_mov_b32_e32 v5, 0
	v_and_b32_e32 v4, 0x3ff, v0
	s_add_co_i32 s13, s13, s12
	s_add_co_i32 s14, s14, s15
	s_load_b256 s[4:11], s[0:1], 0x0
	s_mov_b32 s29, 0
	s_wait_kmcnt 0x0
	s_lshr_b32 s12, s2, 16
	s_and_b32 s2, s2, 0xffff
	s_cmp_eq_u32 s20, 0
	s_cselect_b32 s14, ttmp9, s14
	s_delay_alu instid0(SALU_CYCLE_1)
	v_mad_nc_u64_u32 v[2:3], s2, s14, v[4:5]
	v_bfe_u32 v4, v0, 10, 10
	s_cselect_b32 s2, s3, s13
	s_delay_alu instid0(VALU_DEP_1) | instid1(SALU_CYCLE_1)
	v_mad_nc_u64_u32 v[0:1], s12, s2, v[4:5]
	s_delay_alu instid0(VALU_DEP_3) | instskip(NEXT) | instid1(VALU_DEP_2)
	v_cmp_gt_i64_e32 vcc_lo, s[4:5], v[2:3]
	v_cmp_gt_i64_e64 s2, s[6:7], v[0:1]
	s_and_b32 s2, vcc_lo, s2
	s_delay_alu instid0(SALU_CYCLE_1)
	s_and_saveexec_b32 s3, s2
	s_cbranch_execz .LBB53_6
; %bb.1:
	s_clause 0x3
	s_load_b64 s[2:3], s[0:1], 0x20
	s_load_b256 s[12:19], s[0:1], 0x88
	s_load_b128 s[4:7], s[0:1], 0xa8
	s_load_b64 s[30:31], s[0:1], 0xb8
	s_bfe_u32 s21, ttmp6, 0x40014
	s_lshr_b32 s22, ttmp7, 16
	s_add_co_i32 s21, s21, 1
	v_cmp_lt_i64_e64 s23, s[8:9], 1
	s_mul_i32 s21, s22, s21
	s_bfe_u32 s24, ttmp6, 0x40008
	s_delay_alu instid0(SALU_CYCLE_1)
	s_add_co_i32 s24, s24, s21
	s_cmp_eq_u32 s20, 0
	s_cselect_b32 s28, s22, s24
	s_and_b32 vcc_lo, exec_lo, s23
	s_cbranch_vccnz .LBB53_4
; %bb.2:
	s_clause 0x1
	s_load_b256 s[20:27], s[0:1], 0x30
	s_load_b256 s[36:43], s[0:1], 0x60
	s_wait_kmcnt 0x0
	v_mul_u64_e32 v[4:5], s[24:25], v[2:3]
	v_mul_u64_e32 v[6:7], s[42:43], v[0:1]
	s_clause 0x1
	s_load_b32 s33, s[0:1], 0x28
	s_load_b32 s42, s[0:1], 0x58
	s_load_b64 s[24:25], s[20:21], s28 offset:0x0 scale_offset
	s_load_b64 s[34:35], s[36:37], s28 offset:0x0 scale_offset
	s_wait_kmcnt 0x0
	s_bitcmp1_b32 s33, 0
	s_cselect_b32 vcc_lo, -1, 0
	s_bitcmp1_b32 s42, 0
	s_cselect_b32 s0, -1, 0
	s_lshl_b64 s[20:21], s[22:23], 4
	s_lshl_b64 s[22:23], s[38:39], 4
	s_add_nc_u64 s[20:21], s[24:25], s[20:21]
	s_add_nc_u64 s[22:23], s[34:35], s[22:23]
	s_delay_alu instid0(VALU_DEP_2) | instskip(NEXT) | instid1(VALU_DEP_2)
	v_lshl_add_u64 v[8:9], v[4:5], 4, s[20:21]
	v_lshl_add_u64 v[6:7], v[6:7], 4, s[22:23]
	v_mov_b64_e32 v[4:5], 0
	s_lshl_b64 s[20:21], s[26:27], 4
	s_lshl_b64 s[22:23], s[40:41], 4
	v_add_nc_u64_e32 v[8:9], 8, v[8:9]
	v_add_nc_u64_e32 v[10:11], 8, v[6:7]
	v_mov_b64_e32 v[6:7], 0
.LBB53_3:                               ; =>This Inner Loop Header: Depth=1
	flat_load_b128 v[12:15], v[8:9] offset:-8
	flat_load_b128 v[16:19], v[10:11] offset:-8
	s_wait_xcnt 0x1
	v_add_nc_u64_e32 v[8:9], s[20:21], v[8:9]
	s_wait_xcnt 0x0
	v_add_nc_u64_e32 v[10:11], s[22:23], v[10:11]
	s_add_nc_u64 s[8:9], s[8:9], -1
	s_delay_alu instid0(SALU_CYCLE_1) | instskip(SKIP_4) | instid1(VALU_DEP_2)
	s_cmp_eq_u64 s[8:9], 0
	s_wait_loadcnt_dscnt 0x101
	v_xor_b32_e32 v20, 0x80000000, v15
	s_wait_loadcnt_dscnt 0x0
	v_xor_b32_e32 v21, 0x80000000, v19
	v_cndmask_b32_e32 v15, v15, v20, vcc_lo
	s_delay_alu instid0(VALU_DEP_2) | instskip(NEXT) | instid1(VALU_DEP_1)
	v_cndmask_b32_e64 v19, v19, v21, s0
	v_mul_f64_e32 v[20:21], v[14:15], v[18:19]
	v_mul_f64_e32 v[14:15], v[14:15], v[16:17]
	s_delay_alu instid0(VALU_DEP_2) | instskip(NEXT) | instid1(VALU_DEP_2)
	v_fma_f64 v[16:17], v[12:13], v[16:17], -v[20:21]
	v_fmac_f64_e32 v[14:15], v[12:13], v[18:19]
	s_delay_alu instid0(VALU_DEP_2) | instskip(NEXT) | instid1(VALU_DEP_2)
	v_add_f64_e32 v[6:7], v[6:7], v[16:17]
	v_add_f64_e32 v[4:5], v[4:5], v[14:15]
	s_cbranch_scc0 .LBB53_3
	s_branch .LBB53_5
.LBB53_4:
	v_mov_b64_e32 v[4:5], 0
	v_mov_b64_e32 v[6:7], 0
.LBB53_5:
	s_wait_kmcnt 0x0
	v_mul_u64_e32 v[2:3], s[4:5], v[2:3]
	v_mul_u64_e32 v[0:1], s[6:7], v[0:1]
	s_mul_u64 s[0:1], s[30:31], s[28:29]
	s_lshl_b64 s[4:5], s[18:19], 4
	s_lshl_b64 s[0:1], s[0:1], 4
	s_delay_alu instid0(VALU_DEP_3)
	v_mul_f64_e32 v[10:11], s[2:3], v[4:5]
	s_add_nc_u64 s[0:1], s[16:17], s[0:1]
	v_mul_f64_e32 v[4:5], s[10:11], v[4:5]
	s_add_nc_u64 s[0:1], s[0:1], s[4:5]
	s_delay_alu instid0(VALU_DEP_4) | instid1(SALU_CYCLE_1)
	v_lshl_add_u64 v[2:3], v[2:3], 4, s[0:1]
	s_delay_alu instid0(VALU_DEP_3) | instskip(NEXT) | instid1(VALU_DEP_2)
	v_fma_f64 v[10:11], s[10:11], v[6:7], -v[10:11]
	v_lshl_add_u64 v[8:9], v[0:1], 4, v[2:3]
	s_delay_alu instid0(VALU_DEP_4) | instskip(SKIP_4) | instid1(VALU_DEP_2)
	v_fmac_f64_e32 v[4:5], s[2:3], v[6:7]
	global_load_b128 v[0:3], v[8:9], off
	s_wait_loadcnt 0x0
	v_mul_f64_e32 v[12:13], s[14:15], v[2:3]
	v_mul_f64_e32 v[2:3], s[12:13], v[2:3]
	v_fma_f64 v[6:7], s[12:13], v[0:1], -v[12:13]
	s_delay_alu instid0(VALU_DEP_2) | instskip(NEXT) | instid1(VALU_DEP_2)
	v_fmac_f64_e32 v[2:3], s[14:15], v[0:1]
	v_add_f64_e32 v[0:1], v[10:11], v[6:7]
	s_delay_alu instid0(VALU_DEP_2)
	v_add_f64_e32 v[2:3], v[4:5], v[2:3]
	global_store_b128 v[8:9], v[0:3], off
.LBB53_6:
	s_endpgm
	.section	.rodata,"a",@progbits
	.p2align	6, 0x0
	.amdhsa_kernel _ZN9rocsolver6v33100L11gemm_kernelI19rocblas_complex_numIdElS3_PKPS3_S6_S4_EEvT0_S7_S7_T1_bT2_lS7_S7_lbT3_lS7_S7_lS8_T4_lS7_S7_l
		.amdhsa_group_segment_fixed_size 0
		.amdhsa_private_segment_fixed_size 0
		.amdhsa_kernarg_size 448
		.amdhsa_user_sgpr_count 2
		.amdhsa_user_sgpr_dispatch_ptr 0
		.amdhsa_user_sgpr_queue_ptr 0
		.amdhsa_user_sgpr_kernarg_segment_ptr 1
		.amdhsa_user_sgpr_dispatch_id 0
		.amdhsa_user_sgpr_kernarg_preload_length 0
		.amdhsa_user_sgpr_kernarg_preload_offset 0
		.amdhsa_user_sgpr_private_segment_size 0
		.amdhsa_wavefront_size32 1
		.amdhsa_uses_dynamic_stack 0
		.amdhsa_enable_private_segment 0
		.amdhsa_system_sgpr_workgroup_id_x 1
		.amdhsa_system_sgpr_workgroup_id_y 1
		.amdhsa_system_sgpr_workgroup_id_z 1
		.amdhsa_system_sgpr_workgroup_info 0
		.amdhsa_system_vgpr_workitem_id 1
		.amdhsa_next_free_vgpr 22
		.amdhsa_next_free_sgpr 44
		.amdhsa_named_barrier_count 0
		.amdhsa_reserve_vcc 1
		.amdhsa_float_round_mode_32 0
		.amdhsa_float_round_mode_16_64 0
		.amdhsa_float_denorm_mode_32 3
		.amdhsa_float_denorm_mode_16_64 3
		.amdhsa_fp16_overflow 0
		.amdhsa_memory_ordered 1
		.amdhsa_forward_progress 1
		.amdhsa_inst_pref_size 6
		.amdhsa_round_robin_scheduling 0
		.amdhsa_exception_fp_ieee_invalid_op 0
		.amdhsa_exception_fp_denorm_src 0
		.amdhsa_exception_fp_ieee_div_zero 0
		.amdhsa_exception_fp_ieee_overflow 0
		.amdhsa_exception_fp_ieee_underflow 0
		.amdhsa_exception_fp_ieee_inexact 0
		.amdhsa_exception_int_div_zero 0
	.end_amdhsa_kernel
	.section	.text._ZN9rocsolver6v33100L11gemm_kernelI19rocblas_complex_numIdElS3_PKPS3_S6_S4_EEvT0_S7_S7_T1_bT2_lS7_S7_lbT3_lS7_S7_lS8_T4_lS7_S7_l,"axG",@progbits,_ZN9rocsolver6v33100L11gemm_kernelI19rocblas_complex_numIdElS3_PKPS3_S6_S4_EEvT0_S7_S7_T1_bT2_lS7_S7_lbT3_lS7_S7_lS8_T4_lS7_S7_l,comdat
.Lfunc_end53:
	.size	_ZN9rocsolver6v33100L11gemm_kernelI19rocblas_complex_numIdElS3_PKPS3_S6_S4_EEvT0_S7_S7_T1_bT2_lS7_S7_lbT3_lS7_S7_lS8_T4_lS7_S7_l, .Lfunc_end53-_ZN9rocsolver6v33100L11gemm_kernelI19rocblas_complex_numIdElS3_PKPS3_S6_S4_EEvT0_S7_S7_T1_bT2_lS7_S7_lbT3_lS7_S7_lS8_T4_lS7_S7_l
                                        ; -- End function
	.set _ZN9rocsolver6v33100L11gemm_kernelI19rocblas_complex_numIdElS3_PKPS3_S6_S4_EEvT0_S7_S7_T1_bT2_lS7_S7_lbT3_lS7_S7_lS8_T4_lS7_S7_l.num_vgpr, 22
	.set _ZN9rocsolver6v33100L11gemm_kernelI19rocblas_complex_numIdElS3_PKPS3_S6_S4_EEvT0_S7_S7_T1_bT2_lS7_S7_lbT3_lS7_S7_lS8_T4_lS7_S7_l.num_agpr, 0
	.set _ZN9rocsolver6v33100L11gemm_kernelI19rocblas_complex_numIdElS3_PKPS3_S6_S4_EEvT0_S7_S7_T1_bT2_lS7_S7_lbT3_lS7_S7_lS8_T4_lS7_S7_l.numbered_sgpr, 44
	.set _ZN9rocsolver6v33100L11gemm_kernelI19rocblas_complex_numIdElS3_PKPS3_S6_S4_EEvT0_S7_S7_T1_bT2_lS7_S7_lbT3_lS7_S7_lS8_T4_lS7_S7_l.num_named_barrier, 0
	.set _ZN9rocsolver6v33100L11gemm_kernelI19rocblas_complex_numIdElS3_PKPS3_S6_S4_EEvT0_S7_S7_T1_bT2_lS7_S7_lbT3_lS7_S7_lS8_T4_lS7_S7_l.private_seg_size, 0
	.set _ZN9rocsolver6v33100L11gemm_kernelI19rocblas_complex_numIdElS3_PKPS3_S6_S4_EEvT0_S7_S7_T1_bT2_lS7_S7_lbT3_lS7_S7_lS8_T4_lS7_S7_l.uses_vcc, 1
	.set _ZN9rocsolver6v33100L11gemm_kernelI19rocblas_complex_numIdElS3_PKPS3_S6_S4_EEvT0_S7_S7_T1_bT2_lS7_S7_lbT3_lS7_S7_lS8_T4_lS7_S7_l.uses_flat_scratch, 0
	.set _ZN9rocsolver6v33100L11gemm_kernelI19rocblas_complex_numIdElS3_PKPS3_S6_S4_EEvT0_S7_S7_T1_bT2_lS7_S7_lbT3_lS7_S7_lS8_T4_lS7_S7_l.has_dyn_sized_stack, 0
	.set _ZN9rocsolver6v33100L11gemm_kernelI19rocblas_complex_numIdElS3_PKPS3_S6_S4_EEvT0_S7_S7_T1_bT2_lS7_S7_lbT3_lS7_S7_lS8_T4_lS7_S7_l.has_recursion, 0
	.set _ZN9rocsolver6v33100L11gemm_kernelI19rocblas_complex_numIdElS3_PKPS3_S6_S4_EEvT0_S7_S7_T1_bT2_lS7_S7_lbT3_lS7_S7_lS8_T4_lS7_S7_l.has_indirect_call, 0
	.section	.AMDGPU.csdata,"",@progbits
; Kernel info:
; codeLenInByte = 728
; TotalNumSgprs: 46
; NumVgprs: 22
; ScratchSize: 0
; MemoryBound: 0
; FloatMode: 240
; IeeeMode: 1
; LDSByteSize: 0 bytes/workgroup (compile time only)
; SGPRBlocks: 0
; VGPRBlocks: 1
; NumSGPRsForWavesPerEU: 46
; NumVGPRsForWavesPerEU: 22
; NamedBarCnt: 0
; Occupancy: 16
; WaveLimiterHint : 0
; COMPUTE_PGM_RSRC2:SCRATCH_EN: 0
; COMPUTE_PGM_RSRC2:USER_SGPR: 2
; COMPUTE_PGM_RSRC2:TRAP_HANDLER: 0
; COMPUTE_PGM_RSRC2:TGID_X_EN: 1
; COMPUTE_PGM_RSRC2:TGID_Y_EN: 1
; COMPUTE_PGM_RSRC2:TGID_Z_EN: 1
; COMPUTE_PGM_RSRC2:TIDIG_COMP_CNT: 1
	.section	.text._ZN9rocsolver6v33100L16mfma_gemm_kernelI19rocblas_complex_numIdElPKS3_PKPS3_S6_S6_EEv18rocblas_operation_S9_T0_SA_SA_T1_T2_lSA_SA_lT3_lSA_SA_lSB_T4_lSA_SA_l,"axG",@progbits,_ZN9rocsolver6v33100L16mfma_gemm_kernelI19rocblas_complex_numIdElPKS3_PKPS3_S6_S6_EEv18rocblas_operation_S9_T0_SA_SA_T1_T2_lSA_SA_lT3_lSA_SA_lSB_T4_lSA_SA_l,comdat
	.globl	_ZN9rocsolver6v33100L16mfma_gemm_kernelI19rocblas_complex_numIdElPKS3_PKPS3_S6_S6_EEv18rocblas_operation_S9_T0_SA_SA_T1_T2_lSA_SA_lT3_lSA_SA_lSB_T4_lSA_SA_l ; -- Begin function _ZN9rocsolver6v33100L16mfma_gemm_kernelI19rocblas_complex_numIdElPKS3_PKPS3_S6_S6_EEv18rocblas_operation_S9_T0_SA_SA_T1_T2_lSA_SA_lT3_lSA_SA_lSB_T4_lSA_SA_l
	.p2align	8
	.type	_ZN9rocsolver6v33100L16mfma_gemm_kernelI19rocblas_complex_numIdElPKS3_PKPS3_S6_S6_EEv18rocblas_operation_S9_T0_SA_SA_T1_T2_lSA_SA_lT3_lSA_SA_lSB_T4_lSA_SA_l,@function
_ZN9rocsolver6v33100L16mfma_gemm_kernelI19rocblas_complex_numIdElPKS3_PKPS3_S6_S6_EEv18rocblas_operation_S9_T0_SA_SA_T1_T2_lSA_SA_lT3_lSA_SA_lSB_T4_lSA_SA_l: ; @_ZN9rocsolver6v33100L16mfma_gemm_kernelI19rocblas_complex_numIdElPKS3_PKPS3_S6_S6_EEv18rocblas_operation_S9_T0_SA_SA_T1_T2_lSA_SA_lT3_lSA_SA_lSB_T4_lSA_SA_l
; %bb.0:
	s_endpgm
	.section	.rodata,"a",@progbits
	.p2align	6, 0x0
	.amdhsa_kernel _ZN9rocsolver6v33100L16mfma_gemm_kernelI19rocblas_complex_numIdElPKS3_PKPS3_S6_S6_EEv18rocblas_operation_S9_T0_SA_SA_T1_T2_lSA_SA_lT3_lSA_SA_lSB_T4_lSA_SA_l
		.amdhsa_group_segment_fixed_size 0
		.amdhsa_private_segment_fixed_size 0
		.amdhsa_kernarg_size 168
		.amdhsa_user_sgpr_count 2
		.amdhsa_user_sgpr_dispatch_ptr 0
		.amdhsa_user_sgpr_queue_ptr 0
		.amdhsa_user_sgpr_kernarg_segment_ptr 1
		.amdhsa_user_sgpr_dispatch_id 0
		.amdhsa_user_sgpr_kernarg_preload_length 0
		.amdhsa_user_sgpr_kernarg_preload_offset 0
		.amdhsa_user_sgpr_private_segment_size 0
		.amdhsa_wavefront_size32 1
		.amdhsa_uses_dynamic_stack 0
		.amdhsa_enable_private_segment 0
		.amdhsa_system_sgpr_workgroup_id_x 1
		.amdhsa_system_sgpr_workgroup_id_y 0
		.amdhsa_system_sgpr_workgroup_id_z 0
		.amdhsa_system_sgpr_workgroup_info 0
		.amdhsa_system_vgpr_workitem_id 0
		.amdhsa_next_free_vgpr 1
		.amdhsa_next_free_sgpr 1
		.amdhsa_named_barrier_count 0
		.amdhsa_reserve_vcc 0
		.amdhsa_float_round_mode_32 0
		.amdhsa_float_round_mode_16_64 0
		.amdhsa_float_denorm_mode_32 3
		.amdhsa_float_denorm_mode_16_64 3
		.amdhsa_fp16_overflow 0
		.amdhsa_memory_ordered 1
		.amdhsa_forward_progress 1
		.amdhsa_inst_pref_size 1
		.amdhsa_round_robin_scheduling 0
		.amdhsa_exception_fp_ieee_invalid_op 0
		.amdhsa_exception_fp_denorm_src 0
		.amdhsa_exception_fp_ieee_div_zero 0
		.amdhsa_exception_fp_ieee_overflow 0
		.amdhsa_exception_fp_ieee_underflow 0
		.amdhsa_exception_fp_ieee_inexact 0
		.amdhsa_exception_int_div_zero 0
	.end_amdhsa_kernel
	.section	.text._ZN9rocsolver6v33100L16mfma_gemm_kernelI19rocblas_complex_numIdElPKS3_PKPS3_S6_S6_EEv18rocblas_operation_S9_T0_SA_SA_T1_T2_lSA_SA_lT3_lSA_SA_lSB_T4_lSA_SA_l,"axG",@progbits,_ZN9rocsolver6v33100L16mfma_gemm_kernelI19rocblas_complex_numIdElPKS3_PKPS3_S6_S6_EEv18rocblas_operation_S9_T0_SA_SA_T1_T2_lSA_SA_lT3_lSA_SA_lSB_T4_lSA_SA_l,comdat
.Lfunc_end54:
	.size	_ZN9rocsolver6v33100L16mfma_gemm_kernelI19rocblas_complex_numIdElPKS3_PKPS3_S6_S6_EEv18rocblas_operation_S9_T0_SA_SA_T1_T2_lSA_SA_lT3_lSA_SA_lSB_T4_lSA_SA_l, .Lfunc_end54-_ZN9rocsolver6v33100L16mfma_gemm_kernelI19rocblas_complex_numIdElPKS3_PKPS3_S6_S6_EEv18rocblas_operation_S9_T0_SA_SA_T1_T2_lSA_SA_lT3_lSA_SA_lSB_T4_lSA_SA_l
                                        ; -- End function
	.set _ZN9rocsolver6v33100L16mfma_gemm_kernelI19rocblas_complex_numIdElPKS3_PKPS3_S6_S6_EEv18rocblas_operation_S9_T0_SA_SA_T1_T2_lSA_SA_lT3_lSA_SA_lSB_T4_lSA_SA_l.num_vgpr, 0
	.set _ZN9rocsolver6v33100L16mfma_gemm_kernelI19rocblas_complex_numIdElPKS3_PKPS3_S6_S6_EEv18rocblas_operation_S9_T0_SA_SA_T1_T2_lSA_SA_lT3_lSA_SA_lSB_T4_lSA_SA_l.num_agpr, 0
	.set _ZN9rocsolver6v33100L16mfma_gemm_kernelI19rocblas_complex_numIdElPKS3_PKPS3_S6_S6_EEv18rocblas_operation_S9_T0_SA_SA_T1_T2_lSA_SA_lT3_lSA_SA_lSB_T4_lSA_SA_l.numbered_sgpr, 0
	.set _ZN9rocsolver6v33100L16mfma_gemm_kernelI19rocblas_complex_numIdElPKS3_PKPS3_S6_S6_EEv18rocblas_operation_S9_T0_SA_SA_T1_T2_lSA_SA_lT3_lSA_SA_lSB_T4_lSA_SA_l.num_named_barrier, 0
	.set _ZN9rocsolver6v33100L16mfma_gemm_kernelI19rocblas_complex_numIdElPKS3_PKPS3_S6_S6_EEv18rocblas_operation_S9_T0_SA_SA_T1_T2_lSA_SA_lT3_lSA_SA_lSB_T4_lSA_SA_l.private_seg_size, 0
	.set _ZN9rocsolver6v33100L16mfma_gemm_kernelI19rocblas_complex_numIdElPKS3_PKPS3_S6_S6_EEv18rocblas_operation_S9_T0_SA_SA_T1_T2_lSA_SA_lT3_lSA_SA_lSB_T4_lSA_SA_l.uses_vcc, 0
	.set _ZN9rocsolver6v33100L16mfma_gemm_kernelI19rocblas_complex_numIdElPKS3_PKPS3_S6_S6_EEv18rocblas_operation_S9_T0_SA_SA_T1_T2_lSA_SA_lT3_lSA_SA_lSB_T4_lSA_SA_l.uses_flat_scratch, 0
	.set _ZN9rocsolver6v33100L16mfma_gemm_kernelI19rocblas_complex_numIdElPKS3_PKPS3_S6_S6_EEv18rocblas_operation_S9_T0_SA_SA_T1_T2_lSA_SA_lT3_lSA_SA_lSB_T4_lSA_SA_l.has_dyn_sized_stack, 0
	.set _ZN9rocsolver6v33100L16mfma_gemm_kernelI19rocblas_complex_numIdElPKS3_PKPS3_S6_S6_EEv18rocblas_operation_S9_T0_SA_SA_T1_T2_lSA_SA_lT3_lSA_SA_lSB_T4_lSA_SA_l.has_recursion, 0
	.set _ZN9rocsolver6v33100L16mfma_gemm_kernelI19rocblas_complex_numIdElPKS3_PKPS3_S6_S6_EEv18rocblas_operation_S9_T0_SA_SA_T1_T2_lSA_SA_lT3_lSA_SA_lSB_T4_lSA_SA_l.has_indirect_call, 0
	.section	.AMDGPU.csdata,"",@progbits
; Kernel info:
; codeLenInByte = 4
; TotalNumSgprs: 0
; NumVgprs: 0
; ScratchSize: 0
; MemoryBound: 0
; FloatMode: 240
; IeeeMode: 1
; LDSByteSize: 0 bytes/workgroup (compile time only)
; SGPRBlocks: 0
; VGPRBlocks: 0
; NumSGPRsForWavesPerEU: 1
; NumVGPRsForWavesPerEU: 1
; NamedBarCnt: 0
; Occupancy: 16
; WaveLimiterHint : 0
; COMPUTE_PGM_RSRC2:SCRATCH_EN: 0
; COMPUTE_PGM_RSRC2:USER_SGPR: 2
; COMPUTE_PGM_RSRC2:TRAP_HANDLER: 0
; COMPUTE_PGM_RSRC2:TGID_X_EN: 1
; COMPUTE_PGM_RSRC2:TGID_Y_EN: 0
; COMPUTE_PGM_RSRC2:TGID_Z_EN: 0
; COMPUTE_PGM_RSRC2:TIDIG_COMP_CNT: 0
	.section	.text._ZN9rocsolver6v33100L16mfma_gemm_kernelI19rocblas_complex_numIdElS3_PKPS3_S4_S4_EEv18rocblas_operation_S7_T0_S8_S8_T1_T2_lS8_S8_lT3_lS8_S8_lS9_T4_lS8_S8_l,"axG",@progbits,_ZN9rocsolver6v33100L16mfma_gemm_kernelI19rocblas_complex_numIdElS3_PKPS3_S4_S4_EEv18rocblas_operation_S7_T0_S8_S8_T1_T2_lS8_S8_lT3_lS8_S8_lS9_T4_lS8_S8_l,comdat
	.globl	_ZN9rocsolver6v33100L16mfma_gemm_kernelI19rocblas_complex_numIdElS3_PKPS3_S4_S4_EEv18rocblas_operation_S7_T0_S8_S8_T1_T2_lS8_S8_lT3_lS8_S8_lS9_T4_lS8_S8_l ; -- Begin function _ZN9rocsolver6v33100L16mfma_gemm_kernelI19rocblas_complex_numIdElS3_PKPS3_S4_S4_EEv18rocblas_operation_S7_T0_S8_S8_T1_T2_lS8_S8_lT3_lS8_S8_lS9_T4_lS8_S8_l
	.p2align	8
	.type	_ZN9rocsolver6v33100L16mfma_gemm_kernelI19rocblas_complex_numIdElS3_PKPS3_S4_S4_EEv18rocblas_operation_S7_T0_S8_S8_T1_T2_lS8_S8_lT3_lS8_S8_lS9_T4_lS8_S8_l,@function
_ZN9rocsolver6v33100L16mfma_gemm_kernelI19rocblas_complex_numIdElS3_PKPS3_S4_S4_EEv18rocblas_operation_S7_T0_S8_S8_T1_T2_lS8_S8_lT3_lS8_S8_lS9_T4_lS8_S8_l: ; @_ZN9rocsolver6v33100L16mfma_gemm_kernelI19rocblas_complex_numIdElS3_PKPS3_S4_S4_EEv18rocblas_operation_S7_T0_S8_S8_T1_T2_lS8_S8_lT3_lS8_S8_lS9_T4_lS8_S8_l
; %bb.0:
	s_endpgm
	.section	.rodata,"a",@progbits
	.p2align	6, 0x0
	.amdhsa_kernel _ZN9rocsolver6v33100L16mfma_gemm_kernelI19rocblas_complex_numIdElS3_PKPS3_S4_S4_EEv18rocblas_operation_S7_T0_S8_S8_T1_T2_lS8_S8_lT3_lS8_S8_lS9_T4_lS8_S8_l
		.amdhsa_group_segment_fixed_size 0
		.amdhsa_private_segment_fixed_size 0
		.amdhsa_kernarg_size 184
		.amdhsa_user_sgpr_count 2
		.amdhsa_user_sgpr_dispatch_ptr 0
		.amdhsa_user_sgpr_queue_ptr 0
		.amdhsa_user_sgpr_kernarg_segment_ptr 1
		.amdhsa_user_sgpr_dispatch_id 0
		.amdhsa_user_sgpr_kernarg_preload_length 0
		.amdhsa_user_sgpr_kernarg_preload_offset 0
		.amdhsa_user_sgpr_private_segment_size 0
		.amdhsa_wavefront_size32 1
		.amdhsa_uses_dynamic_stack 0
		.amdhsa_enable_private_segment 0
		.amdhsa_system_sgpr_workgroup_id_x 1
		.amdhsa_system_sgpr_workgroup_id_y 0
		.amdhsa_system_sgpr_workgroup_id_z 0
		.amdhsa_system_sgpr_workgroup_info 0
		.amdhsa_system_vgpr_workitem_id 0
		.amdhsa_next_free_vgpr 1
		.amdhsa_next_free_sgpr 1
		.amdhsa_named_barrier_count 0
		.amdhsa_reserve_vcc 0
		.amdhsa_float_round_mode_32 0
		.amdhsa_float_round_mode_16_64 0
		.amdhsa_float_denorm_mode_32 3
		.amdhsa_float_denorm_mode_16_64 3
		.amdhsa_fp16_overflow 0
		.amdhsa_memory_ordered 1
		.amdhsa_forward_progress 1
		.amdhsa_inst_pref_size 1
		.amdhsa_round_robin_scheduling 0
		.amdhsa_exception_fp_ieee_invalid_op 0
		.amdhsa_exception_fp_denorm_src 0
		.amdhsa_exception_fp_ieee_div_zero 0
		.amdhsa_exception_fp_ieee_overflow 0
		.amdhsa_exception_fp_ieee_underflow 0
		.amdhsa_exception_fp_ieee_inexact 0
		.amdhsa_exception_int_div_zero 0
	.end_amdhsa_kernel
	.section	.text._ZN9rocsolver6v33100L16mfma_gemm_kernelI19rocblas_complex_numIdElS3_PKPS3_S4_S4_EEv18rocblas_operation_S7_T0_S8_S8_T1_T2_lS8_S8_lT3_lS8_S8_lS9_T4_lS8_S8_l,"axG",@progbits,_ZN9rocsolver6v33100L16mfma_gemm_kernelI19rocblas_complex_numIdElS3_PKPS3_S4_S4_EEv18rocblas_operation_S7_T0_S8_S8_T1_T2_lS8_S8_lT3_lS8_S8_lS9_T4_lS8_S8_l,comdat
.Lfunc_end55:
	.size	_ZN9rocsolver6v33100L16mfma_gemm_kernelI19rocblas_complex_numIdElS3_PKPS3_S4_S4_EEv18rocblas_operation_S7_T0_S8_S8_T1_T2_lS8_S8_lT3_lS8_S8_lS9_T4_lS8_S8_l, .Lfunc_end55-_ZN9rocsolver6v33100L16mfma_gemm_kernelI19rocblas_complex_numIdElS3_PKPS3_S4_S4_EEv18rocblas_operation_S7_T0_S8_S8_T1_T2_lS8_S8_lT3_lS8_S8_lS9_T4_lS8_S8_l
                                        ; -- End function
	.set _ZN9rocsolver6v33100L16mfma_gemm_kernelI19rocblas_complex_numIdElS3_PKPS3_S4_S4_EEv18rocblas_operation_S7_T0_S8_S8_T1_T2_lS8_S8_lT3_lS8_S8_lS9_T4_lS8_S8_l.num_vgpr, 0
	.set _ZN9rocsolver6v33100L16mfma_gemm_kernelI19rocblas_complex_numIdElS3_PKPS3_S4_S4_EEv18rocblas_operation_S7_T0_S8_S8_T1_T2_lS8_S8_lT3_lS8_S8_lS9_T4_lS8_S8_l.num_agpr, 0
	.set _ZN9rocsolver6v33100L16mfma_gemm_kernelI19rocblas_complex_numIdElS3_PKPS3_S4_S4_EEv18rocblas_operation_S7_T0_S8_S8_T1_T2_lS8_S8_lT3_lS8_S8_lS9_T4_lS8_S8_l.numbered_sgpr, 0
	.set _ZN9rocsolver6v33100L16mfma_gemm_kernelI19rocblas_complex_numIdElS3_PKPS3_S4_S4_EEv18rocblas_operation_S7_T0_S8_S8_T1_T2_lS8_S8_lT3_lS8_S8_lS9_T4_lS8_S8_l.num_named_barrier, 0
	.set _ZN9rocsolver6v33100L16mfma_gemm_kernelI19rocblas_complex_numIdElS3_PKPS3_S4_S4_EEv18rocblas_operation_S7_T0_S8_S8_T1_T2_lS8_S8_lT3_lS8_S8_lS9_T4_lS8_S8_l.private_seg_size, 0
	.set _ZN9rocsolver6v33100L16mfma_gemm_kernelI19rocblas_complex_numIdElS3_PKPS3_S4_S4_EEv18rocblas_operation_S7_T0_S8_S8_T1_T2_lS8_S8_lT3_lS8_S8_lS9_T4_lS8_S8_l.uses_vcc, 0
	.set _ZN9rocsolver6v33100L16mfma_gemm_kernelI19rocblas_complex_numIdElS3_PKPS3_S4_S4_EEv18rocblas_operation_S7_T0_S8_S8_T1_T2_lS8_S8_lT3_lS8_S8_lS9_T4_lS8_S8_l.uses_flat_scratch, 0
	.set _ZN9rocsolver6v33100L16mfma_gemm_kernelI19rocblas_complex_numIdElS3_PKPS3_S4_S4_EEv18rocblas_operation_S7_T0_S8_S8_T1_T2_lS8_S8_lT3_lS8_S8_lS9_T4_lS8_S8_l.has_dyn_sized_stack, 0
	.set _ZN9rocsolver6v33100L16mfma_gemm_kernelI19rocblas_complex_numIdElS3_PKPS3_S4_S4_EEv18rocblas_operation_S7_T0_S8_S8_T1_T2_lS8_S8_lT3_lS8_S8_lS9_T4_lS8_S8_l.has_recursion, 0
	.set _ZN9rocsolver6v33100L16mfma_gemm_kernelI19rocblas_complex_numIdElS3_PKPS3_S4_S4_EEv18rocblas_operation_S7_T0_S8_S8_T1_T2_lS8_S8_lT3_lS8_S8_lS9_T4_lS8_S8_l.has_indirect_call, 0
	.section	.AMDGPU.csdata,"",@progbits
; Kernel info:
; codeLenInByte = 4
; TotalNumSgprs: 0
; NumVgprs: 0
; ScratchSize: 0
; MemoryBound: 0
; FloatMode: 240
; IeeeMode: 1
; LDSByteSize: 0 bytes/workgroup (compile time only)
; SGPRBlocks: 0
; VGPRBlocks: 0
; NumSGPRsForWavesPerEU: 1
; NumVGPRsForWavesPerEU: 1
; NamedBarCnt: 0
; Occupancy: 16
; WaveLimiterHint : 0
; COMPUTE_PGM_RSRC2:SCRATCH_EN: 0
; COMPUTE_PGM_RSRC2:USER_SGPR: 2
; COMPUTE_PGM_RSRC2:TRAP_HANDLER: 0
; COMPUTE_PGM_RSRC2:TGID_X_EN: 1
; COMPUTE_PGM_RSRC2:TGID_Y_EN: 0
; COMPUTE_PGM_RSRC2:TGID_Z_EN: 0
; COMPUTE_PGM_RSRC2:TIDIG_COMP_CNT: 0
	.section	.text._ZN9rocsolver6v33100L11gemm_kernelI19rocblas_complex_numIdElPKS3_PKPS3_S6_S6_EEvT0_S9_S9_T1_bT2_lS9_S9_lbT3_lS9_S9_lSA_T4_lS9_S9_l,"axG",@progbits,_ZN9rocsolver6v33100L11gemm_kernelI19rocblas_complex_numIdElPKS3_PKPS3_S6_S6_EEvT0_S9_S9_T1_bT2_lS9_S9_lbT3_lS9_S9_lSA_T4_lS9_S9_l,comdat
	.globl	_ZN9rocsolver6v33100L11gemm_kernelI19rocblas_complex_numIdElPKS3_PKPS3_S6_S6_EEvT0_S9_S9_T1_bT2_lS9_S9_lbT3_lS9_S9_lSA_T4_lS9_S9_l ; -- Begin function _ZN9rocsolver6v33100L11gemm_kernelI19rocblas_complex_numIdElPKS3_PKPS3_S6_S6_EEvT0_S9_S9_T1_bT2_lS9_S9_lbT3_lS9_S9_lSA_T4_lS9_S9_l
	.p2align	8
	.type	_ZN9rocsolver6v33100L11gemm_kernelI19rocblas_complex_numIdElPKS3_PKPS3_S6_S6_EEvT0_S9_S9_T1_bT2_lS9_S9_lbT3_lS9_S9_lSA_T4_lS9_S9_l,@function
_ZN9rocsolver6v33100L11gemm_kernelI19rocblas_complex_numIdElPKS3_PKPS3_S6_S6_EEvT0_S9_S9_T1_bT2_lS9_S9_lbT3_lS9_S9_lSA_T4_lS9_S9_l: ; @_ZN9rocsolver6v33100L11gemm_kernelI19rocblas_complex_numIdElPKS3_PKPS3_S6_S6_EEvT0_S9_S9_T1_bT2_lS9_S9_lbT3_lS9_S9_lSA_T4_lS9_S9_l
; %bb.0:
	s_load_b32 s2, s[0:1], 0xbc
	s_bfe_u32 s5, ttmp6, 0x40010
	s_bfe_u32 s8, ttmp6, 0x4000c
	s_and_b32 s4, ttmp7, 0xffff
	s_add_co_i32 s5, s5, 1
	s_add_co_i32 s8, s8, 1
	s_bfe_u32 s6, ttmp6, 0x40004
	s_and_b32 s7, ttmp6, 15
	s_mul_i32 s5, s4, s5
	s_mul_i32 s8, ttmp9, s8
	s_getreg_b32 s3, hwreg(HW_REG_IB_STS2, 6, 4)
	v_mov_b32_e32 v5, 0
	v_and_b32_e32 v4, 0x3ff, v0
	s_add_co_i32 s6, s6, s5
	s_add_co_i32 s7, s7, s8
	s_load_b256 s[16:23], s[0:1], 0x0
	s_mov_b32 s35, 0
	s_wait_kmcnt 0x0
	s_lshr_b32 s5, s2, 16
	s_and_b32 s2, s2, 0xffff
	s_cmp_eq_u32 s3, 0
	s_cselect_b32 s7, ttmp9, s7
	s_delay_alu instid0(SALU_CYCLE_1)
	v_mad_nc_u64_u32 v[2:3], s2, s7, v[4:5]
	v_bfe_u32 v4, v0, 10, 10
	s_cselect_b32 s2, s4, s6
	s_delay_alu instid0(VALU_DEP_1) | instid1(SALU_CYCLE_1)
	v_mad_nc_u64_u32 v[0:1], s5, s2, v[4:5]
	s_delay_alu instid0(VALU_DEP_3) | instskip(NEXT) | instid1(VALU_DEP_2)
	v_cmp_gt_i64_e32 vcc_lo, s[16:17], v[2:3]
	v_cmp_gt_i64_e64 s2, s[18:19], v[0:1]
	s_and_b32 s2, vcc_lo, s2
	s_delay_alu instid0(SALU_CYCLE_1)
	s_and_saveexec_b32 s4, s2
	s_cbranch_execz .LBB56_6
; %bb.1:
	s_load_b512 s[4:19], s[0:1], 0x58
	s_bfe_u32 s2, ttmp6, 0x40014
	s_lshr_b32 s24, ttmp7, 16
	s_add_co_i32 s2, s2, 1
	v_cmp_lt_i64_e64 s25, s[20:21], 1
	s_mul_i32 s2, s24, s2
	s_bfe_u32 s26, ttmp6, 0x40008
	s_delay_alu instid0(SALU_CYCLE_1)
	s_add_co_i32 s26, s26, s2
	s_cmp_eq_u32 s3, 0
	s_cselect_b32 s34, s24, s26
	s_and_b32 vcc_lo, exec_lo, s25
	s_cbranch_vccnz .LBB56_4
; %bb.2:
	s_clause 0x1
	s_load_b256 s[24:31], s[0:1], 0x28
	s_load_b32 s2, s[0:1], 0x20
	s_wait_kmcnt 0x0
	v_mul_u64_e32 v[4:5], s[10:11], v[0:1]
	s_mul_u64 s[12:13], s[12:13], s[34:35]
	s_load_b32 s3, s[0:1], 0x50
	s_load_b64 s[10:11], s[24:25], s34 offset:0x0 scale_offset
	v_mul_u64_e32 v[6:7], s[28:29], v[2:3]
	s_bitcmp1_b32 s2, 0
	s_cselect_b32 vcc_lo, -1, 0
	s_wait_kmcnt 0x0
	s_bitcmp1_b32 s3, 0
	s_cselect_b32 s2, -1, 0
	s_lshl_b64 s[6:7], s[6:7], 4
	s_lshl_b64 s[12:13], s[12:13], 4
	s_add_nc_u64 s[4:5], s[4:5], s[6:7]
	s_lshl_b64 s[6:7], s[26:27], 4
	s_add_nc_u64 s[4:5], s[4:5], s[12:13]
	s_add_nc_u64 s[6:7], s[10:11], s[6:7]
	s_delay_alu instid0(VALU_DEP_2) | instskip(SKIP_2) | instid1(VALU_DEP_3)
	v_lshl_add_u64 v[8:9], v[4:5], 4, s[4:5]
	v_mov_b64_e32 v[4:5], 0
	s_lshl_b64 s[4:5], s[30:31], 4
	v_lshl_add_u64 v[6:7], v[6:7], 4, s[6:7]
	s_delay_alu instid0(VALU_DEP_3) | instskip(SKIP_1) | instid1(VALU_DEP_2)
	v_add_nc_u64_e32 v[8:9], 8, v[8:9]
	s_lshl_b64 s[6:7], s[8:9], 4
	v_add_nc_u64_e32 v[10:11], 8, v[6:7]
	v_mov_b64_e32 v[6:7], 0
.LBB56_3:                               ; =>This Inner Loop Header: Depth=1
	flat_load_b128 v[12:15], v[10:11] offset:-8
	global_load_b128 v[16:19], v[8:9], off offset:-8
	s_wait_xcnt 0x1
	v_add_nc_u64_e32 v[10:11], s[4:5], v[10:11]
	s_wait_xcnt 0x0
	v_add_nc_u64_e32 v[8:9], s[6:7], v[8:9]
	s_add_nc_u64 s[20:21], s[20:21], -1
	s_delay_alu instid0(SALU_CYCLE_1) | instskip(SKIP_4) | instid1(VALU_DEP_2)
	s_cmp_eq_u64 s[20:21], 0
	s_wait_loadcnt_dscnt 0x100
	v_xor_b32_e32 v20, 0x80000000, v15
	s_wait_loadcnt 0x0
	v_xor_b32_e32 v21, 0x80000000, v19
	v_cndmask_b32_e32 v15, v15, v20, vcc_lo
	s_delay_alu instid0(VALU_DEP_2) | instskip(NEXT) | instid1(VALU_DEP_1)
	v_cndmask_b32_e64 v19, v19, v21, s2
	v_mul_f64_e32 v[20:21], v[14:15], v[18:19]
	v_mul_f64_e32 v[14:15], v[14:15], v[16:17]
	s_delay_alu instid0(VALU_DEP_2) | instskip(NEXT) | instid1(VALU_DEP_2)
	v_fma_f64 v[16:17], v[12:13], v[16:17], -v[20:21]
	v_fmac_f64_e32 v[14:15], v[12:13], v[18:19]
	s_delay_alu instid0(VALU_DEP_2) | instskip(NEXT) | instid1(VALU_DEP_2)
	v_add_f64_e32 v[6:7], v[6:7], v[16:17]
	v_add_f64_e32 v[4:5], v[4:5], v[14:15]
	s_cbranch_scc0 .LBB56_3
	s_branch .LBB56_5
.LBB56_4:
	v_mov_b64_e32 v[4:5], 0
	v_mov_b64_e32 v[6:7], 0
.LBB56_5:
	s_wait_kmcnt 0x0
	s_load_b128 s[8:11], s[22:23], 0x0
	s_load_b128 s[4:7], s[14:15], 0x0
                                        ; kill: killed $sgpr14_sgpr15
                                        ; kill: killed $sgpr22_sgpr23
	s_wait_xcnt 0x0
	s_clause 0x1
	s_load_b128 s[12:15], s[0:1], 0x98
	s_load_b64 s[2:3], s[0:1], 0xa8
	s_wait_kmcnt 0x0
	s_delay_alu instid0(VALU_DEP_1)
	v_mul_f64_e32 v[10:11], s[10:11], v[4:5]
	v_mul_f64_e32 v[4:5], s[8:9], v[4:5]
	v_mul_u64_e32 v[2:3], s[12:13], v[2:3]
	v_mul_u64_e32 v[0:1], s[14:15], v[0:1]
	s_mul_u64 s[0:1], s[2:3], s[34:35]
	s_lshl_b64 s[2:3], s[18:19], 4
	s_lshl_b64 s[0:1], s[0:1], 4
	s_delay_alu instid0(SALU_CYCLE_1) | instskip(NEXT) | instid1(SALU_CYCLE_1)
	s_add_nc_u64 s[0:1], s[16:17], s[0:1]
	s_add_nc_u64 s[0:1], s[0:1], s[2:3]
	s_delay_alu instid0(VALU_DEP_4) | instskip(NEXT) | instid1(VALU_DEP_4)
	v_fma_f64 v[10:11], s[8:9], v[6:7], -v[10:11]
	v_fmac_f64_e32 v[4:5], s[10:11], v[6:7]
	s_delay_alu instid0(VALU_DEP_4) | instskip(NEXT) | instid1(VALU_DEP_1)
	v_lshl_add_u64 v[2:3], v[2:3], 4, s[0:1]
	v_lshl_add_u64 v[8:9], v[0:1], 4, v[2:3]
	global_load_b128 v[0:3], v[8:9], off
	s_wait_loadcnt 0x0
	v_mul_f64_e32 v[12:13], s[6:7], v[2:3]
	v_mul_f64_e32 v[2:3], s[4:5], v[2:3]
	s_delay_alu instid0(VALU_DEP_2) | instskip(NEXT) | instid1(VALU_DEP_2)
	v_fma_f64 v[6:7], s[4:5], v[0:1], -v[12:13]
	v_fmac_f64_e32 v[2:3], s[6:7], v[0:1]
	s_delay_alu instid0(VALU_DEP_2) | instskip(NEXT) | instid1(VALU_DEP_2)
	v_add_f64_e32 v[0:1], v[10:11], v[6:7]
	v_add_f64_e32 v[2:3], v[4:5], v[2:3]
	global_store_b128 v[8:9], v[0:3], off
.LBB56_6:
	s_endpgm
	.section	.rodata,"a",@progbits
	.p2align	6, 0x0
	.amdhsa_kernel _ZN9rocsolver6v33100L11gemm_kernelI19rocblas_complex_numIdElPKS3_PKPS3_S6_S6_EEvT0_S9_S9_T1_bT2_lS9_S9_lbT3_lS9_S9_lSA_T4_lS9_S9_l
		.amdhsa_group_segment_fixed_size 0
		.amdhsa_private_segment_fixed_size 0
		.amdhsa_kernarg_size 432
		.amdhsa_user_sgpr_count 2
		.amdhsa_user_sgpr_dispatch_ptr 0
		.amdhsa_user_sgpr_queue_ptr 0
		.amdhsa_user_sgpr_kernarg_segment_ptr 1
		.amdhsa_user_sgpr_dispatch_id 0
		.amdhsa_user_sgpr_kernarg_preload_length 0
		.amdhsa_user_sgpr_kernarg_preload_offset 0
		.amdhsa_user_sgpr_private_segment_size 0
		.amdhsa_wavefront_size32 1
		.amdhsa_uses_dynamic_stack 0
		.amdhsa_enable_private_segment 0
		.amdhsa_system_sgpr_workgroup_id_x 1
		.amdhsa_system_sgpr_workgroup_id_y 1
		.amdhsa_system_sgpr_workgroup_id_z 1
		.amdhsa_system_sgpr_workgroup_info 0
		.amdhsa_system_vgpr_workitem_id 1
		.amdhsa_next_free_vgpr 22
		.amdhsa_next_free_sgpr 36
		.amdhsa_named_barrier_count 0
		.amdhsa_reserve_vcc 1
		.amdhsa_float_round_mode_32 0
		.amdhsa_float_round_mode_16_64 0
		.amdhsa_float_denorm_mode_32 3
		.amdhsa_float_denorm_mode_16_64 3
		.amdhsa_fp16_overflow 0
		.amdhsa_memory_ordered 1
		.amdhsa_forward_progress 1
		.amdhsa_inst_pref_size 6
		.amdhsa_round_robin_scheduling 0
		.amdhsa_exception_fp_ieee_invalid_op 0
		.amdhsa_exception_fp_denorm_src 0
		.amdhsa_exception_fp_ieee_div_zero 0
		.amdhsa_exception_fp_ieee_overflow 0
		.amdhsa_exception_fp_ieee_underflow 0
		.amdhsa_exception_fp_ieee_inexact 0
		.amdhsa_exception_int_div_zero 0
	.end_amdhsa_kernel
	.section	.text._ZN9rocsolver6v33100L11gemm_kernelI19rocblas_complex_numIdElPKS3_PKPS3_S6_S6_EEvT0_S9_S9_T1_bT2_lS9_S9_lbT3_lS9_S9_lSA_T4_lS9_S9_l,"axG",@progbits,_ZN9rocsolver6v33100L11gemm_kernelI19rocblas_complex_numIdElPKS3_PKPS3_S6_S6_EEvT0_S9_S9_T1_bT2_lS9_S9_lbT3_lS9_S9_lSA_T4_lS9_S9_l,comdat
.Lfunc_end56:
	.size	_ZN9rocsolver6v33100L11gemm_kernelI19rocblas_complex_numIdElPKS3_PKPS3_S6_S6_EEvT0_S9_S9_T1_bT2_lS9_S9_lbT3_lS9_S9_lSA_T4_lS9_S9_l, .Lfunc_end56-_ZN9rocsolver6v33100L11gemm_kernelI19rocblas_complex_numIdElPKS3_PKPS3_S6_S6_EEvT0_S9_S9_T1_bT2_lS9_S9_lbT3_lS9_S9_lSA_T4_lS9_S9_l
                                        ; -- End function
	.set _ZN9rocsolver6v33100L11gemm_kernelI19rocblas_complex_numIdElPKS3_PKPS3_S6_S6_EEvT0_S9_S9_T1_bT2_lS9_S9_lbT3_lS9_S9_lSA_T4_lS9_S9_l.num_vgpr, 22
	.set _ZN9rocsolver6v33100L11gemm_kernelI19rocblas_complex_numIdElPKS3_PKPS3_S6_S6_EEvT0_S9_S9_T1_bT2_lS9_S9_lbT3_lS9_S9_lSA_T4_lS9_S9_l.num_agpr, 0
	.set _ZN9rocsolver6v33100L11gemm_kernelI19rocblas_complex_numIdElPKS3_PKPS3_S6_S6_EEvT0_S9_S9_T1_bT2_lS9_S9_lbT3_lS9_S9_lSA_T4_lS9_S9_l.numbered_sgpr, 36
	.set _ZN9rocsolver6v33100L11gemm_kernelI19rocblas_complex_numIdElPKS3_PKPS3_S6_S6_EEvT0_S9_S9_T1_bT2_lS9_S9_lbT3_lS9_S9_lSA_T4_lS9_S9_l.num_named_barrier, 0
	.set _ZN9rocsolver6v33100L11gemm_kernelI19rocblas_complex_numIdElPKS3_PKPS3_S6_S6_EEvT0_S9_S9_T1_bT2_lS9_S9_lbT3_lS9_S9_lSA_T4_lS9_S9_l.private_seg_size, 0
	.set _ZN9rocsolver6v33100L11gemm_kernelI19rocblas_complex_numIdElPKS3_PKPS3_S6_S6_EEvT0_S9_S9_T1_bT2_lS9_S9_lbT3_lS9_S9_lSA_T4_lS9_S9_l.uses_vcc, 1
	.set _ZN9rocsolver6v33100L11gemm_kernelI19rocblas_complex_numIdElPKS3_PKPS3_S6_S6_EEvT0_S9_S9_T1_bT2_lS9_S9_lbT3_lS9_S9_lSA_T4_lS9_S9_l.uses_flat_scratch, 0
	.set _ZN9rocsolver6v33100L11gemm_kernelI19rocblas_complex_numIdElPKS3_PKPS3_S6_S6_EEvT0_S9_S9_T1_bT2_lS9_S9_lbT3_lS9_S9_lSA_T4_lS9_S9_l.has_dyn_sized_stack, 0
	.set _ZN9rocsolver6v33100L11gemm_kernelI19rocblas_complex_numIdElPKS3_PKPS3_S6_S6_EEvT0_S9_S9_T1_bT2_lS9_S9_lbT3_lS9_S9_lSA_T4_lS9_S9_l.has_recursion, 0
	.set _ZN9rocsolver6v33100L11gemm_kernelI19rocblas_complex_numIdElPKS3_PKPS3_S6_S6_EEvT0_S9_S9_T1_bT2_lS9_S9_lbT3_lS9_S9_lSA_T4_lS9_S9_l.has_indirect_call, 0
	.section	.AMDGPU.csdata,"",@progbits
; Kernel info:
; codeLenInByte = 740
; TotalNumSgprs: 38
; NumVgprs: 22
; ScratchSize: 0
; MemoryBound: 0
; FloatMode: 240
; IeeeMode: 1
; LDSByteSize: 0 bytes/workgroup (compile time only)
; SGPRBlocks: 0
; VGPRBlocks: 1
; NumSGPRsForWavesPerEU: 38
; NumVGPRsForWavesPerEU: 22
; NamedBarCnt: 0
; Occupancy: 16
; WaveLimiterHint : 0
; COMPUTE_PGM_RSRC2:SCRATCH_EN: 0
; COMPUTE_PGM_RSRC2:USER_SGPR: 2
; COMPUTE_PGM_RSRC2:TRAP_HANDLER: 0
; COMPUTE_PGM_RSRC2:TGID_X_EN: 1
; COMPUTE_PGM_RSRC2:TGID_Y_EN: 1
; COMPUTE_PGM_RSRC2:TGID_Z_EN: 1
; COMPUTE_PGM_RSRC2:TIDIG_COMP_CNT: 1
	.section	.text._ZN9rocsolver6v33100L11gemm_kernelI19rocblas_complex_numIdElS3_PKPS3_S4_S4_EEvT0_S7_S7_T1_bT2_lS7_S7_lbT3_lS7_S7_lS8_T4_lS7_S7_l,"axG",@progbits,_ZN9rocsolver6v33100L11gemm_kernelI19rocblas_complex_numIdElS3_PKPS3_S4_S4_EEvT0_S7_S7_T1_bT2_lS7_S7_lbT3_lS7_S7_lS8_T4_lS7_S7_l,comdat
	.globl	_ZN9rocsolver6v33100L11gemm_kernelI19rocblas_complex_numIdElS3_PKPS3_S4_S4_EEvT0_S7_S7_T1_bT2_lS7_S7_lbT3_lS7_S7_lS8_T4_lS7_S7_l ; -- Begin function _ZN9rocsolver6v33100L11gemm_kernelI19rocblas_complex_numIdElS3_PKPS3_S4_S4_EEvT0_S7_S7_T1_bT2_lS7_S7_lbT3_lS7_S7_lS8_T4_lS7_S7_l
	.p2align	8
	.type	_ZN9rocsolver6v33100L11gemm_kernelI19rocblas_complex_numIdElS3_PKPS3_S4_S4_EEvT0_S7_S7_T1_bT2_lS7_S7_lbT3_lS7_S7_lS8_T4_lS7_S7_l,@function
_ZN9rocsolver6v33100L11gemm_kernelI19rocblas_complex_numIdElS3_PKPS3_S4_S4_EEvT0_S7_S7_T1_bT2_lS7_S7_lbT3_lS7_S7_lS8_T4_lS7_S7_l: ; @_ZN9rocsolver6v33100L11gemm_kernelI19rocblas_complex_numIdElS3_PKPS3_S4_S4_EEvT0_S7_S7_T1_bT2_lS7_S7_lbT3_lS7_S7_lS8_T4_lS7_S7_l
; %bb.0:
	s_load_b32 s2, s[0:1], 0xcc
	s_bfe_u32 s5, ttmp6, 0x40010
	s_bfe_u32 s8, ttmp6, 0x4000c
	s_and_b32 s4, ttmp7, 0xffff
	s_add_co_i32 s5, s5, 1
	s_add_co_i32 s8, s8, 1
	s_bfe_u32 s6, ttmp6, 0x40004
	s_and_b32 s7, ttmp6, 15
	s_mul_i32 s5, s4, s5
	s_mul_i32 s8, ttmp9, s8
	s_getreg_b32 s3, hwreg(HW_REG_IB_STS2, 6, 4)
	v_mov_b32_e32 v5, 0
	v_and_b32_e32 v4, 0x3ff, v0
	s_add_co_i32 s6, s6, s5
	s_add_co_i32 s7, s7, s8
	s_load_b256 s[16:23], s[0:1], 0x0
	s_mov_b32 s37, 0
	s_wait_kmcnt 0x0
	s_lshr_b32 s5, s2, 16
	s_and_b32 s2, s2, 0xffff
	s_cmp_eq_u32 s3, 0
	s_cselect_b32 s7, ttmp9, s7
	s_delay_alu instid0(SALU_CYCLE_1)
	v_mad_nc_u64_u32 v[2:3], s2, s7, v[4:5]
	v_bfe_u32 v4, v0, 10, 10
	s_cselect_b32 s2, s4, s6
	s_delay_alu instid0(VALU_DEP_1) | instid1(SALU_CYCLE_1)
	v_mad_nc_u64_u32 v[0:1], s5, s2, v[4:5]
	s_delay_alu instid0(VALU_DEP_3) | instskip(NEXT) | instid1(VALU_DEP_2)
	v_cmp_gt_i64_e32 vcc_lo, s[16:17], v[2:3]
	v_cmp_gt_i64_e64 s2, s[18:19], v[0:1]
	s_and_b32 s2, vcc_lo, s2
	s_delay_alu instid0(SALU_CYCLE_1)
	s_and_saveexec_b32 s4, s2
	s_cbranch_execz .LBB57_6
; %bb.1:
	s_clause 0x1
	s_load_b64 s[34:35], s[0:1], 0x20
	s_load_b512 s[4:19], s[0:1], 0x60
	s_bfe_u32 s2, ttmp6, 0x40014
	s_lshr_b32 s24, ttmp7, 16
	s_add_co_i32 s2, s2, 1
	v_cmp_lt_i64_e64 s25, s[20:21], 1
	s_mul_i32 s2, s24, s2
	s_bfe_u32 s26, ttmp6, 0x40008
	s_delay_alu instid0(SALU_CYCLE_1)
	s_add_co_i32 s26, s26, s2
	s_cmp_eq_u32 s3, 0
	s_cselect_b32 s36, s24, s26
	s_and_b32 vcc_lo, exec_lo, s25
	s_cbranch_vccnz .LBB57_4
; %bb.2:
	s_clause 0x1
	s_load_b256 s[24:31], s[0:1], 0x30
	s_load_b32 s2, s[0:1], 0x28
	s_wait_kmcnt 0x0
	v_mul_u64_e32 v[4:5], s[10:11], v[0:1]
	s_mul_u64 s[12:13], s[12:13], s[36:37]
	s_load_b32 s3, s[0:1], 0x58
	s_load_b64 s[10:11], s[24:25], s36 offset:0x0 scale_offset
	v_mul_u64_e32 v[6:7], s[28:29], v[2:3]
	s_bitcmp1_b32 s2, 0
	s_cselect_b32 vcc_lo, -1, 0
	s_wait_kmcnt 0x0
	s_bitcmp1_b32 s3, 0
	s_cselect_b32 s2, -1, 0
	s_lshl_b64 s[6:7], s[6:7], 4
	s_lshl_b64 s[12:13], s[12:13], 4
	s_add_nc_u64 s[4:5], s[4:5], s[6:7]
	s_lshl_b64 s[6:7], s[26:27], 4
	s_add_nc_u64 s[4:5], s[4:5], s[12:13]
	s_add_nc_u64 s[6:7], s[10:11], s[6:7]
	s_delay_alu instid0(VALU_DEP_2) | instskip(SKIP_2) | instid1(VALU_DEP_3)
	v_lshl_add_u64 v[8:9], v[4:5], 4, s[4:5]
	v_mov_b64_e32 v[4:5], 0
	s_lshl_b64 s[4:5], s[30:31], 4
	v_lshl_add_u64 v[6:7], v[6:7], 4, s[6:7]
	s_delay_alu instid0(VALU_DEP_3) | instskip(SKIP_1) | instid1(VALU_DEP_2)
	v_add_nc_u64_e32 v[8:9], 8, v[8:9]
	s_lshl_b64 s[6:7], s[8:9], 4
	v_add_nc_u64_e32 v[10:11], 8, v[6:7]
	v_mov_b64_e32 v[6:7], 0
.LBB57_3:                               ; =>This Inner Loop Header: Depth=1
	flat_load_b128 v[12:15], v[10:11] offset:-8
	global_load_b128 v[16:19], v[8:9], off offset:-8
	s_wait_xcnt 0x1
	v_add_nc_u64_e32 v[10:11], s[4:5], v[10:11]
	s_wait_xcnt 0x0
	v_add_nc_u64_e32 v[8:9], s[6:7], v[8:9]
	s_add_nc_u64 s[20:21], s[20:21], -1
	s_delay_alu instid0(SALU_CYCLE_1) | instskip(SKIP_4) | instid1(VALU_DEP_2)
	s_cmp_eq_u64 s[20:21], 0
	s_wait_loadcnt_dscnt 0x100
	v_xor_b32_e32 v20, 0x80000000, v15
	s_wait_loadcnt 0x0
	v_xor_b32_e32 v21, 0x80000000, v19
	v_cndmask_b32_e32 v15, v15, v20, vcc_lo
	s_delay_alu instid0(VALU_DEP_2) | instskip(NEXT) | instid1(VALU_DEP_1)
	v_cndmask_b32_e64 v19, v19, v21, s2
	v_mul_f64_e32 v[20:21], v[14:15], v[18:19]
	v_mul_f64_e32 v[14:15], v[14:15], v[16:17]
	s_delay_alu instid0(VALU_DEP_2) | instskip(NEXT) | instid1(VALU_DEP_2)
	v_fma_f64 v[16:17], v[12:13], v[16:17], -v[20:21]
	v_fmac_f64_e32 v[14:15], v[12:13], v[18:19]
	s_delay_alu instid0(VALU_DEP_2) | instskip(NEXT) | instid1(VALU_DEP_2)
	v_add_f64_e32 v[6:7], v[6:7], v[16:17]
	v_add_f64_e32 v[4:5], v[4:5], v[14:15]
	s_cbranch_scc0 .LBB57_3
	s_branch .LBB57_5
.LBB57_4:
	v_mov_b64_e32 v[4:5], 0
	v_mov_b64_e32 v[6:7], 0
.LBB57_5:
	s_wait_kmcnt 0x0
	s_load_b256 s[4:11], s[0:1], 0xa0
	s_delay_alu instid0(VALU_DEP_1)
	v_mul_f64_e32 v[10:11], s[34:35], v[4:5]
	v_mul_f64_e32 v[4:5], s[22:23], v[4:5]
	s_wait_kmcnt 0x0
	v_mul_u64_e32 v[2:3], s[6:7], v[2:3]
	v_mul_u64_e32 v[0:1], s[8:9], v[0:1]
	s_mul_u64 s[0:1], s[10:11], s[36:37]
	s_lshl_b64 s[2:3], s[4:5], 4
	s_lshl_b64 s[0:1], s[0:1], 4
	s_delay_alu instid0(SALU_CYCLE_1) | instskip(NEXT) | instid1(SALU_CYCLE_1)
	s_add_nc_u64 s[0:1], s[18:19], s[0:1]
	s_add_nc_u64 s[0:1], s[0:1], s[2:3]
	s_delay_alu instid0(VALU_DEP_4) | instskip(NEXT) | instid1(VALU_DEP_4)
	v_fma_f64 v[10:11], s[22:23], v[6:7], -v[10:11]
	v_fmac_f64_e32 v[4:5], s[34:35], v[6:7]
	s_delay_alu instid0(VALU_DEP_4) | instskip(NEXT) | instid1(VALU_DEP_1)
	v_lshl_add_u64 v[2:3], v[2:3], 4, s[0:1]
	v_lshl_add_u64 v[8:9], v[0:1], 4, v[2:3]
	global_load_b128 v[0:3], v[8:9], off
	s_wait_loadcnt 0x0
	v_mul_f64_e32 v[12:13], s[16:17], v[2:3]
	v_mul_f64_e32 v[2:3], s[14:15], v[2:3]
	s_delay_alu instid0(VALU_DEP_2) | instskip(NEXT) | instid1(VALU_DEP_2)
	v_fma_f64 v[6:7], s[14:15], v[0:1], -v[12:13]
	v_fmac_f64_e32 v[2:3], s[16:17], v[0:1]
	s_delay_alu instid0(VALU_DEP_2) | instskip(NEXT) | instid1(VALU_DEP_2)
	v_add_f64_e32 v[0:1], v[10:11], v[6:7]
	v_add_f64_e32 v[2:3], v[4:5], v[2:3]
	global_store_b128 v[8:9], v[0:3], off
.LBB57_6:
	s_endpgm
	.section	.rodata,"a",@progbits
	.p2align	6, 0x0
	.amdhsa_kernel _ZN9rocsolver6v33100L11gemm_kernelI19rocblas_complex_numIdElS3_PKPS3_S4_S4_EEvT0_S7_S7_T1_bT2_lS7_S7_lbT3_lS7_S7_lS8_T4_lS7_S7_l
		.amdhsa_group_segment_fixed_size 0
		.amdhsa_private_segment_fixed_size 0
		.amdhsa_kernarg_size 448
		.amdhsa_user_sgpr_count 2
		.amdhsa_user_sgpr_dispatch_ptr 0
		.amdhsa_user_sgpr_queue_ptr 0
		.amdhsa_user_sgpr_kernarg_segment_ptr 1
		.amdhsa_user_sgpr_dispatch_id 0
		.amdhsa_user_sgpr_kernarg_preload_length 0
		.amdhsa_user_sgpr_kernarg_preload_offset 0
		.amdhsa_user_sgpr_private_segment_size 0
		.amdhsa_wavefront_size32 1
		.amdhsa_uses_dynamic_stack 0
		.amdhsa_enable_private_segment 0
		.amdhsa_system_sgpr_workgroup_id_x 1
		.amdhsa_system_sgpr_workgroup_id_y 1
		.amdhsa_system_sgpr_workgroup_id_z 1
		.amdhsa_system_sgpr_workgroup_info 0
		.amdhsa_system_vgpr_workitem_id 1
		.amdhsa_next_free_vgpr 22
		.amdhsa_next_free_sgpr 38
		.amdhsa_named_barrier_count 0
		.amdhsa_reserve_vcc 1
		.amdhsa_float_round_mode_32 0
		.amdhsa_float_round_mode_16_64 0
		.amdhsa_float_denorm_mode_32 3
		.amdhsa_float_denorm_mode_16_64 3
		.amdhsa_fp16_overflow 0
		.amdhsa_memory_ordered 1
		.amdhsa_forward_progress 1
		.amdhsa_inst_pref_size 6
		.amdhsa_round_robin_scheduling 0
		.amdhsa_exception_fp_ieee_invalid_op 0
		.amdhsa_exception_fp_denorm_src 0
		.amdhsa_exception_fp_ieee_div_zero 0
		.amdhsa_exception_fp_ieee_overflow 0
		.amdhsa_exception_fp_ieee_underflow 0
		.amdhsa_exception_fp_ieee_inexact 0
		.amdhsa_exception_int_div_zero 0
	.end_amdhsa_kernel
	.section	.text._ZN9rocsolver6v33100L11gemm_kernelI19rocblas_complex_numIdElS3_PKPS3_S4_S4_EEvT0_S7_S7_T1_bT2_lS7_S7_lbT3_lS7_S7_lS8_T4_lS7_S7_l,"axG",@progbits,_ZN9rocsolver6v33100L11gemm_kernelI19rocblas_complex_numIdElS3_PKPS3_S4_S4_EEvT0_S7_S7_T1_bT2_lS7_S7_lbT3_lS7_S7_lS8_T4_lS7_S7_l,comdat
.Lfunc_end57:
	.size	_ZN9rocsolver6v33100L11gemm_kernelI19rocblas_complex_numIdElS3_PKPS3_S4_S4_EEvT0_S7_S7_T1_bT2_lS7_S7_lbT3_lS7_S7_lS8_T4_lS7_S7_l, .Lfunc_end57-_ZN9rocsolver6v33100L11gemm_kernelI19rocblas_complex_numIdElS3_PKPS3_S4_S4_EEvT0_S7_S7_T1_bT2_lS7_S7_lbT3_lS7_S7_lS8_T4_lS7_S7_l
                                        ; -- End function
	.set _ZN9rocsolver6v33100L11gemm_kernelI19rocblas_complex_numIdElS3_PKPS3_S4_S4_EEvT0_S7_S7_T1_bT2_lS7_S7_lbT3_lS7_S7_lS8_T4_lS7_S7_l.num_vgpr, 22
	.set _ZN9rocsolver6v33100L11gemm_kernelI19rocblas_complex_numIdElS3_PKPS3_S4_S4_EEvT0_S7_S7_T1_bT2_lS7_S7_lbT3_lS7_S7_lS8_T4_lS7_S7_l.num_agpr, 0
	.set _ZN9rocsolver6v33100L11gemm_kernelI19rocblas_complex_numIdElS3_PKPS3_S4_S4_EEvT0_S7_S7_T1_bT2_lS7_S7_lbT3_lS7_S7_lS8_T4_lS7_S7_l.numbered_sgpr, 38
	.set _ZN9rocsolver6v33100L11gemm_kernelI19rocblas_complex_numIdElS3_PKPS3_S4_S4_EEvT0_S7_S7_T1_bT2_lS7_S7_lbT3_lS7_S7_lS8_T4_lS7_S7_l.num_named_barrier, 0
	.set _ZN9rocsolver6v33100L11gemm_kernelI19rocblas_complex_numIdElS3_PKPS3_S4_S4_EEvT0_S7_S7_T1_bT2_lS7_S7_lbT3_lS7_S7_lS8_T4_lS7_S7_l.private_seg_size, 0
	.set _ZN9rocsolver6v33100L11gemm_kernelI19rocblas_complex_numIdElS3_PKPS3_S4_S4_EEvT0_S7_S7_T1_bT2_lS7_S7_lbT3_lS7_S7_lS8_T4_lS7_S7_l.uses_vcc, 1
	.set _ZN9rocsolver6v33100L11gemm_kernelI19rocblas_complex_numIdElS3_PKPS3_S4_S4_EEvT0_S7_S7_T1_bT2_lS7_S7_lbT3_lS7_S7_lS8_T4_lS7_S7_l.uses_flat_scratch, 0
	.set _ZN9rocsolver6v33100L11gemm_kernelI19rocblas_complex_numIdElS3_PKPS3_S4_S4_EEvT0_S7_S7_T1_bT2_lS7_S7_lbT3_lS7_S7_lS8_T4_lS7_S7_l.has_dyn_sized_stack, 0
	.set _ZN9rocsolver6v33100L11gemm_kernelI19rocblas_complex_numIdElS3_PKPS3_S4_S4_EEvT0_S7_S7_T1_bT2_lS7_S7_lbT3_lS7_S7_lS8_T4_lS7_S7_l.has_recursion, 0
	.set _ZN9rocsolver6v33100L11gemm_kernelI19rocblas_complex_numIdElS3_PKPS3_S4_S4_EEvT0_S7_S7_T1_bT2_lS7_S7_lbT3_lS7_S7_lS8_T4_lS7_S7_l.has_indirect_call, 0
	.section	.AMDGPU.csdata,"",@progbits
; Kernel info:
; codeLenInByte = 720
; TotalNumSgprs: 40
; NumVgprs: 22
; ScratchSize: 0
; MemoryBound: 0
; FloatMode: 240
; IeeeMode: 1
; LDSByteSize: 0 bytes/workgroup (compile time only)
; SGPRBlocks: 0
; VGPRBlocks: 1
; NumSGPRsForWavesPerEU: 40
; NumVGPRsForWavesPerEU: 22
; NamedBarCnt: 0
; Occupancy: 16
; WaveLimiterHint : 0
; COMPUTE_PGM_RSRC2:SCRATCH_EN: 0
; COMPUTE_PGM_RSRC2:USER_SGPR: 2
; COMPUTE_PGM_RSRC2:TRAP_HANDLER: 0
; COMPUTE_PGM_RSRC2:TGID_X_EN: 1
; COMPUTE_PGM_RSRC2:TGID_Y_EN: 1
; COMPUTE_PGM_RSRC2:TGID_Z_EN: 1
; COMPUTE_PGM_RSRC2:TIDIG_COMP_CNT: 1
	.section	.text._ZN9rocsolver6v33100L16mfma_gemm_kernelI19rocblas_complex_numIdElPKS3_PS3_PKS6_S6_EEv18rocblas_operation_S9_T0_SA_SA_T1_T2_lSA_SA_lT3_lSA_SA_lSB_T4_lSA_SA_l,"axG",@progbits,_ZN9rocsolver6v33100L16mfma_gemm_kernelI19rocblas_complex_numIdElPKS3_PS3_PKS6_S6_EEv18rocblas_operation_S9_T0_SA_SA_T1_T2_lSA_SA_lT3_lSA_SA_lSB_T4_lSA_SA_l,comdat
	.globl	_ZN9rocsolver6v33100L16mfma_gemm_kernelI19rocblas_complex_numIdElPKS3_PS3_PKS6_S6_EEv18rocblas_operation_S9_T0_SA_SA_T1_T2_lSA_SA_lT3_lSA_SA_lSB_T4_lSA_SA_l ; -- Begin function _ZN9rocsolver6v33100L16mfma_gemm_kernelI19rocblas_complex_numIdElPKS3_PS3_PKS6_S6_EEv18rocblas_operation_S9_T0_SA_SA_T1_T2_lSA_SA_lT3_lSA_SA_lSB_T4_lSA_SA_l
	.p2align	8
	.type	_ZN9rocsolver6v33100L16mfma_gemm_kernelI19rocblas_complex_numIdElPKS3_PS3_PKS6_S6_EEv18rocblas_operation_S9_T0_SA_SA_T1_T2_lSA_SA_lT3_lSA_SA_lSB_T4_lSA_SA_l,@function
_ZN9rocsolver6v33100L16mfma_gemm_kernelI19rocblas_complex_numIdElPKS3_PS3_PKS6_S6_EEv18rocblas_operation_S9_T0_SA_SA_T1_T2_lSA_SA_lT3_lSA_SA_lSB_T4_lSA_SA_l: ; @_ZN9rocsolver6v33100L16mfma_gemm_kernelI19rocblas_complex_numIdElPKS3_PS3_PKS6_S6_EEv18rocblas_operation_S9_T0_SA_SA_T1_T2_lSA_SA_lT3_lSA_SA_lSB_T4_lSA_SA_l
; %bb.0:
	s_endpgm
	.section	.rodata,"a",@progbits
	.p2align	6, 0x0
	.amdhsa_kernel _ZN9rocsolver6v33100L16mfma_gemm_kernelI19rocblas_complex_numIdElPKS3_PS3_PKS6_S6_EEv18rocblas_operation_S9_T0_SA_SA_T1_T2_lSA_SA_lT3_lSA_SA_lSB_T4_lSA_SA_l
		.amdhsa_group_segment_fixed_size 0
		.amdhsa_private_segment_fixed_size 0
		.amdhsa_kernarg_size 168
		.amdhsa_user_sgpr_count 2
		.amdhsa_user_sgpr_dispatch_ptr 0
		.amdhsa_user_sgpr_queue_ptr 0
		.amdhsa_user_sgpr_kernarg_segment_ptr 1
		.amdhsa_user_sgpr_dispatch_id 0
		.amdhsa_user_sgpr_kernarg_preload_length 0
		.amdhsa_user_sgpr_kernarg_preload_offset 0
		.amdhsa_user_sgpr_private_segment_size 0
		.amdhsa_wavefront_size32 1
		.amdhsa_uses_dynamic_stack 0
		.amdhsa_enable_private_segment 0
		.amdhsa_system_sgpr_workgroup_id_x 1
		.amdhsa_system_sgpr_workgroup_id_y 0
		.amdhsa_system_sgpr_workgroup_id_z 0
		.amdhsa_system_sgpr_workgroup_info 0
		.amdhsa_system_vgpr_workitem_id 0
		.amdhsa_next_free_vgpr 1
		.amdhsa_next_free_sgpr 1
		.amdhsa_named_barrier_count 0
		.amdhsa_reserve_vcc 0
		.amdhsa_float_round_mode_32 0
		.amdhsa_float_round_mode_16_64 0
		.amdhsa_float_denorm_mode_32 3
		.amdhsa_float_denorm_mode_16_64 3
		.amdhsa_fp16_overflow 0
		.amdhsa_memory_ordered 1
		.amdhsa_forward_progress 1
		.amdhsa_inst_pref_size 1
		.amdhsa_round_robin_scheduling 0
		.amdhsa_exception_fp_ieee_invalid_op 0
		.amdhsa_exception_fp_denorm_src 0
		.amdhsa_exception_fp_ieee_div_zero 0
		.amdhsa_exception_fp_ieee_overflow 0
		.amdhsa_exception_fp_ieee_underflow 0
		.amdhsa_exception_fp_ieee_inexact 0
		.amdhsa_exception_int_div_zero 0
	.end_amdhsa_kernel
	.section	.text._ZN9rocsolver6v33100L16mfma_gemm_kernelI19rocblas_complex_numIdElPKS3_PS3_PKS6_S6_EEv18rocblas_operation_S9_T0_SA_SA_T1_T2_lSA_SA_lT3_lSA_SA_lSB_T4_lSA_SA_l,"axG",@progbits,_ZN9rocsolver6v33100L16mfma_gemm_kernelI19rocblas_complex_numIdElPKS3_PS3_PKS6_S6_EEv18rocblas_operation_S9_T0_SA_SA_T1_T2_lSA_SA_lT3_lSA_SA_lSB_T4_lSA_SA_l,comdat
.Lfunc_end58:
	.size	_ZN9rocsolver6v33100L16mfma_gemm_kernelI19rocblas_complex_numIdElPKS3_PS3_PKS6_S6_EEv18rocblas_operation_S9_T0_SA_SA_T1_T2_lSA_SA_lT3_lSA_SA_lSB_T4_lSA_SA_l, .Lfunc_end58-_ZN9rocsolver6v33100L16mfma_gemm_kernelI19rocblas_complex_numIdElPKS3_PS3_PKS6_S6_EEv18rocblas_operation_S9_T0_SA_SA_T1_T2_lSA_SA_lT3_lSA_SA_lSB_T4_lSA_SA_l
                                        ; -- End function
	.set _ZN9rocsolver6v33100L16mfma_gemm_kernelI19rocblas_complex_numIdElPKS3_PS3_PKS6_S6_EEv18rocblas_operation_S9_T0_SA_SA_T1_T2_lSA_SA_lT3_lSA_SA_lSB_T4_lSA_SA_l.num_vgpr, 0
	.set _ZN9rocsolver6v33100L16mfma_gemm_kernelI19rocblas_complex_numIdElPKS3_PS3_PKS6_S6_EEv18rocblas_operation_S9_T0_SA_SA_T1_T2_lSA_SA_lT3_lSA_SA_lSB_T4_lSA_SA_l.num_agpr, 0
	.set _ZN9rocsolver6v33100L16mfma_gemm_kernelI19rocblas_complex_numIdElPKS3_PS3_PKS6_S6_EEv18rocblas_operation_S9_T0_SA_SA_T1_T2_lSA_SA_lT3_lSA_SA_lSB_T4_lSA_SA_l.numbered_sgpr, 0
	.set _ZN9rocsolver6v33100L16mfma_gemm_kernelI19rocblas_complex_numIdElPKS3_PS3_PKS6_S6_EEv18rocblas_operation_S9_T0_SA_SA_T1_T2_lSA_SA_lT3_lSA_SA_lSB_T4_lSA_SA_l.num_named_barrier, 0
	.set _ZN9rocsolver6v33100L16mfma_gemm_kernelI19rocblas_complex_numIdElPKS3_PS3_PKS6_S6_EEv18rocblas_operation_S9_T0_SA_SA_T1_T2_lSA_SA_lT3_lSA_SA_lSB_T4_lSA_SA_l.private_seg_size, 0
	.set _ZN9rocsolver6v33100L16mfma_gemm_kernelI19rocblas_complex_numIdElPKS3_PS3_PKS6_S6_EEv18rocblas_operation_S9_T0_SA_SA_T1_T2_lSA_SA_lT3_lSA_SA_lSB_T4_lSA_SA_l.uses_vcc, 0
	.set _ZN9rocsolver6v33100L16mfma_gemm_kernelI19rocblas_complex_numIdElPKS3_PS3_PKS6_S6_EEv18rocblas_operation_S9_T0_SA_SA_T1_T2_lSA_SA_lT3_lSA_SA_lSB_T4_lSA_SA_l.uses_flat_scratch, 0
	.set _ZN9rocsolver6v33100L16mfma_gemm_kernelI19rocblas_complex_numIdElPKS3_PS3_PKS6_S6_EEv18rocblas_operation_S9_T0_SA_SA_T1_T2_lSA_SA_lT3_lSA_SA_lSB_T4_lSA_SA_l.has_dyn_sized_stack, 0
	.set _ZN9rocsolver6v33100L16mfma_gemm_kernelI19rocblas_complex_numIdElPKS3_PS3_PKS6_S6_EEv18rocblas_operation_S9_T0_SA_SA_T1_T2_lSA_SA_lT3_lSA_SA_lSB_T4_lSA_SA_l.has_recursion, 0
	.set _ZN9rocsolver6v33100L16mfma_gemm_kernelI19rocblas_complex_numIdElPKS3_PS3_PKS6_S6_EEv18rocblas_operation_S9_T0_SA_SA_T1_T2_lSA_SA_lT3_lSA_SA_lSB_T4_lSA_SA_l.has_indirect_call, 0
	.section	.AMDGPU.csdata,"",@progbits
; Kernel info:
; codeLenInByte = 4
; TotalNumSgprs: 0
; NumVgprs: 0
; ScratchSize: 0
; MemoryBound: 0
; FloatMode: 240
; IeeeMode: 1
; LDSByteSize: 0 bytes/workgroup (compile time only)
; SGPRBlocks: 0
; VGPRBlocks: 0
; NumSGPRsForWavesPerEU: 1
; NumVGPRsForWavesPerEU: 1
; NamedBarCnt: 0
; Occupancy: 16
; WaveLimiterHint : 0
; COMPUTE_PGM_RSRC2:SCRATCH_EN: 0
; COMPUTE_PGM_RSRC2:USER_SGPR: 2
; COMPUTE_PGM_RSRC2:TRAP_HANDLER: 0
; COMPUTE_PGM_RSRC2:TGID_X_EN: 1
; COMPUTE_PGM_RSRC2:TGID_Y_EN: 0
; COMPUTE_PGM_RSRC2:TGID_Z_EN: 0
; COMPUTE_PGM_RSRC2:TIDIG_COMP_CNT: 0
	.section	.text._ZN9rocsolver6v33100L16mfma_gemm_kernelI19rocblas_complex_numIdElS3_PS3_PKS4_S4_EEv18rocblas_operation_S7_T0_S8_S8_T1_T2_lS8_S8_lT3_lS8_S8_lS9_T4_lS8_S8_l,"axG",@progbits,_ZN9rocsolver6v33100L16mfma_gemm_kernelI19rocblas_complex_numIdElS3_PS3_PKS4_S4_EEv18rocblas_operation_S7_T0_S8_S8_T1_T2_lS8_S8_lT3_lS8_S8_lS9_T4_lS8_S8_l,comdat
	.globl	_ZN9rocsolver6v33100L16mfma_gemm_kernelI19rocblas_complex_numIdElS3_PS3_PKS4_S4_EEv18rocblas_operation_S7_T0_S8_S8_T1_T2_lS8_S8_lT3_lS8_S8_lS9_T4_lS8_S8_l ; -- Begin function _ZN9rocsolver6v33100L16mfma_gemm_kernelI19rocblas_complex_numIdElS3_PS3_PKS4_S4_EEv18rocblas_operation_S7_T0_S8_S8_T1_T2_lS8_S8_lT3_lS8_S8_lS9_T4_lS8_S8_l
	.p2align	8
	.type	_ZN9rocsolver6v33100L16mfma_gemm_kernelI19rocblas_complex_numIdElS3_PS3_PKS4_S4_EEv18rocblas_operation_S7_T0_S8_S8_T1_T2_lS8_S8_lT3_lS8_S8_lS9_T4_lS8_S8_l,@function
_ZN9rocsolver6v33100L16mfma_gemm_kernelI19rocblas_complex_numIdElS3_PS3_PKS4_S4_EEv18rocblas_operation_S7_T0_S8_S8_T1_T2_lS8_S8_lT3_lS8_S8_lS9_T4_lS8_S8_l: ; @_ZN9rocsolver6v33100L16mfma_gemm_kernelI19rocblas_complex_numIdElS3_PS3_PKS4_S4_EEv18rocblas_operation_S7_T0_S8_S8_T1_T2_lS8_S8_lT3_lS8_S8_lS9_T4_lS8_S8_l
; %bb.0:
	s_endpgm
	.section	.rodata,"a",@progbits
	.p2align	6, 0x0
	.amdhsa_kernel _ZN9rocsolver6v33100L16mfma_gemm_kernelI19rocblas_complex_numIdElS3_PS3_PKS4_S4_EEv18rocblas_operation_S7_T0_S8_S8_T1_T2_lS8_S8_lT3_lS8_S8_lS9_T4_lS8_S8_l
		.amdhsa_group_segment_fixed_size 0
		.amdhsa_private_segment_fixed_size 0
		.amdhsa_kernarg_size 184
		.amdhsa_user_sgpr_count 2
		.amdhsa_user_sgpr_dispatch_ptr 0
		.amdhsa_user_sgpr_queue_ptr 0
		.amdhsa_user_sgpr_kernarg_segment_ptr 1
		.amdhsa_user_sgpr_dispatch_id 0
		.amdhsa_user_sgpr_kernarg_preload_length 0
		.amdhsa_user_sgpr_kernarg_preload_offset 0
		.amdhsa_user_sgpr_private_segment_size 0
		.amdhsa_wavefront_size32 1
		.amdhsa_uses_dynamic_stack 0
		.amdhsa_enable_private_segment 0
		.amdhsa_system_sgpr_workgroup_id_x 1
		.amdhsa_system_sgpr_workgroup_id_y 0
		.amdhsa_system_sgpr_workgroup_id_z 0
		.amdhsa_system_sgpr_workgroup_info 0
		.amdhsa_system_vgpr_workitem_id 0
		.amdhsa_next_free_vgpr 1
		.amdhsa_next_free_sgpr 1
		.amdhsa_named_barrier_count 0
		.amdhsa_reserve_vcc 0
		.amdhsa_float_round_mode_32 0
		.amdhsa_float_round_mode_16_64 0
		.amdhsa_float_denorm_mode_32 3
		.amdhsa_float_denorm_mode_16_64 3
		.amdhsa_fp16_overflow 0
		.amdhsa_memory_ordered 1
		.amdhsa_forward_progress 1
		.amdhsa_inst_pref_size 1
		.amdhsa_round_robin_scheduling 0
		.amdhsa_exception_fp_ieee_invalid_op 0
		.amdhsa_exception_fp_denorm_src 0
		.amdhsa_exception_fp_ieee_div_zero 0
		.amdhsa_exception_fp_ieee_overflow 0
		.amdhsa_exception_fp_ieee_underflow 0
		.amdhsa_exception_fp_ieee_inexact 0
		.amdhsa_exception_int_div_zero 0
	.end_amdhsa_kernel
	.section	.text._ZN9rocsolver6v33100L16mfma_gemm_kernelI19rocblas_complex_numIdElS3_PS3_PKS4_S4_EEv18rocblas_operation_S7_T0_S8_S8_T1_T2_lS8_S8_lT3_lS8_S8_lS9_T4_lS8_S8_l,"axG",@progbits,_ZN9rocsolver6v33100L16mfma_gemm_kernelI19rocblas_complex_numIdElS3_PS3_PKS4_S4_EEv18rocblas_operation_S7_T0_S8_S8_T1_T2_lS8_S8_lT3_lS8_S8_lS9_T4_lS8_S8_l,comdat
.Lfunc_end59:
	.size	_ZN9rocsolver6v33100L16mfma_gemm_kernelI19rocblas_complex_numIdElS3_PS3_PKS4_S4_EEv18rocblas_operation_S7_T0_S8_S8_T1_T2_lS8_S8_lT3_lS8_S8_lS9_T4_lS8_S8_l, .Lfunc_end59-_ZN9rocsolver6v33100L16mfma_gemm_kernelI19rocblas_complex_numIdElS3_PS3_PKS4_S4_EEv18rocblas_operation_S7_T0_S8_S8_T1_T2_lS8_S8_lT3_lS8_S8_lS9_T4_lS8_S8_l
                                        ; -- End function
	.set _ZN9rocsolver6v33100L16mfma_gemm_kernelI19rocblas_complex_numIdElS3_PS3_PKS4_S4_EEv18rocblas_operation_S7_T0_S8_S8_T1_T2_lS8_S8_lT3_lS8_S8_lS9_T4_lS8_S8_l.num_vgpr, 0
	.set _ZN9rocsolver6v33100L16mfma_gemm_kernelI19rocblas_complex_numIdElS3_PS3_PKS4_S4_EEv18rocblas_operation_S7_T0_S8_S8_T1_T2_lS8_S8_lT3_lS8_S8_lS9_T4_lS8_S8_l.num_agpr, 0
	.set _ZN9rocsolver6v33100L16mfma_gemm_kernelI19rocblas_complex_numIdElS3_PS3_PKS4_S4_EEv18rocblas_operation_S7_T0_S8_S8_T1_T2_lS8_S8_lT3_lS8_S8_lS9_T4_lS8_S8_l.numbered_sgpr, 0
	.set _ZN9rocsolver6v33100L16mfma_gemm_kernelI19rocblas_complex_numIdElS3_PS3_PKS4_S4_EEv18rocblas_operation_S7_T0_S8_S8_T1_T2_lS8_S8_lT3_lS8_S8_lS9_T4_lS8_S8_l.num_named_barrier, 0
	.set _ZN9rocsolver6v33100L16mfma_gemm_kernelI19rocblas_complex_numIdElS3_PS3_PKS4_S4_EEv18rocblas_operation_S7_T0_S8_S8_T1_T2_lS8_S8_lT3_lS8_S8_lS9_T4_lS8_S8_l.private_seg_size, 0
	.set _ZN9rocsolver6v33100L16mfma_gemm_kernelI19rocblas_complex_numIdElS3_PS3_PKS4_S4_EEv18rocblas_operation_S7_T0_S8_S8_T1_T2_lS8_S8_lT3_lS8_S8_lS9_T4_lS8_S8_l.uses_vcc, 0
	.set _ZN9rocsolver6v33100L16mfma_gemm_kernelI19rocblas_complex_numIdElS3_PS3_PKS4_S4_EEv18rocblas_operation_S7_T0_S8_S8_T1_T2_lS8_S8_lT3_lS8_S8_lS9_T4_lS8_S8_l.uses_flat_scratch, 0
	.set _ZN9rocsolver6v33100L16mfma_gemm_kernelI19rocblas_complex_numIdElS3_PS3_PKS4_S4_EEv18rocblas_operation_S7_T0_S8_S8_T1_T2_lS8_S8_lT3_lS8_S8_lS9_T4_lS8_S8_l.has_dyn_sized_stack, 0
	.set _ZN9rocsolver6v33100L16mfma_gemm_kernelI19rocblas_complex_numIdElS3_PS3_PKS4_S4_EEv18rocblas_operation_S7_T0_S8_S8_T1_T2_lS8_S8_lT3_lS8_S8_lS9_T4_lS8_S8_l.has_recursion, 0
	.set _ZN9rocsolver6v33100L16mfma_gemm_kernelI19rocblas_complex_numIdElS3_PS3_PKS4_S4_EEv18rocblas_operation_S7_T0_S8_S8_T1_T2_lS8_S8_lT3_lS8_S8_lS9_T4_lS8_S8_l.has_indirect_call, 0
	.section	.AMDGPU.csdata,"",@progbits
; Kernel info:
; codeLenInByte = 4
; TotalNumSgprs: 0
; NumVgprs: 0
; ScratchSize: 0
; MemoryBound: 0
; FloatMode: 240
; IeeeMode: 1
; LDSByteSize: 0 bytes/workgroup (compile time only)
; SGPRBlocks: 0
; VGPRBlocks: 0
; NumSGPRsForWavesPerEU: 1
; NumVGPRsForWavesPerEU: 1
; NamedBarCnt: 0
; Occupancy: 16
; WaveLimiterHint : 0
; COMPUTE_PGM_RSRC2:SCRATCH_EN: 0
; COMPUTE_PGM_RSRC2:USER_SGPR: 2
; COMPUTE_PGM_RSRC2:TRAP_HANDLER: 0
; COMPUTE_PGM_RSRC2:TGID_X_EN: 1
; COMPUTE_PGM_RSRC2:TGID_Y_EN: 0
; COMPUTE_PGM_RSRC2:TGID_Z_EN: 0
; COMPUTE_PGM_RSRC2:TIDIG_COMP_CNT: 0
	.section	.text._ZN9rocsolver6v33100L11gemm_kernelI19rocblas_complex_numIdElPKS3_PS3_PKS6_S6_EEvT0_S9_S9_T1_bT2_lS9_S9_lbT3_lS9_S9_lSA_T4_lS9_S9_l,"axG",@progbits,_ZN9rocsolver6v33100L11gemm_kernelI19rocblas_complex_numIdElPKS3_PS3_PKS6_S6_EEvT0_S9_S9_T1_bT2_lS9_S9_lbT3_lS9_S9_lSA_T4_lS9_S9_l,comdat
	.globl	_ZN9rocsolver6v33100L11gemm_kernelI19rocblas_complex_numIdElPKS3_PS3_PKS6_S6_EEvT0_S9_S9_T1_bT2_lS9_S9_lbT3_lS9_S9_lSA_T4_lS9_S9_l ; -- Begin function _ZN9rocsolver6v33100L11gemm_kernelI19rocblas_complex_numIdElPKS3_PS3_PKS6_S6_EEvT0_S9_S9_T1_bT2_lS9_S9_lbT3_lS9_S9_lSA_T4_lS9_S9_l
	.p2align	8
	.type	_ZN9rocsolver6v33100L11gemm_kernelI19rocblas_complex_numIdElPKS3_PS3_PKS6_S6_EEvT0_S9_S9_T1_bT2_lS9_S9_lbT3_lS9_S9_lSA_T4_lS9_S9_l,@function
_ZN9rocsolver6v33100L11gemm_kernelI19rocblas_complex_numIdElPKS3_PS3_PKS6_S6_EEvT0_S9_S9_T1_bT2_lS9_S9_lbT3_lS9_S9_lSA_T4_lS9_S9_l: ; @_ZN9rocsolver6v33100L11gemm_kernelI19rocblas_complex_numIdElPKS3_PS3_PKS6_S6_EEvT0_S9_S9_T1_bT2_lS9_S9_lbT3_lS9_S9_lSA_T4_lS9_S9_l
; %bb.0:
	s_load_b32 s2, s[0:1], 0xbc
	s_bfe_u32 s5, ttmp6, 0x40010
	s_bfe_u32 s16, ttmp6, 0x4000c
	s_and_b32 s4, ttmp7, 0xffff
	s_add_co_i32 s5, s5, 1
	s_add_co_i32 s16, s16, 1
	s_bfe_u32 s6, ttmp6, 0x40004
	s_and_b32 s7, ttmp6, 15
	s_mul_i32 s5, s4, s5
	s_mul_i32 s16, ttmp9, s16
	s_getreg_b32 s3, hwreg(HW_REG_IB_STS2, 6, 4)
	v_mov_b32_e32 v5, 0
	v_and_b32_e32 v4, 0x3ff, v0
	s_add_co_i32 s6, s6, s5
	s_add_co_i32 s7, s7, s16
	s_load_b256 s[8:15], s[0:1], 0x0
	s_mov_b32 s35, 0
	s_wait_kmcnt 0x0
	s_lshr_b32 s5, s2, 16
	s_and_b32 s2, s2, 0xffff
	s_cmp_eq_u32 s3, 0
	s_cselect_b32 s7, ttmp9, s7
	s_delay_alu instid0(SALU_CYCLE_1)
	v_mad_nc_u64_u32 v[2:3], s2, s7, v[4:5]
	v_bfe_u32 v4, v0, 10, 10
	s_cselect_b32 s2, s4, s6
	s_delay_alu instid0(VALU_DEP_1) | instid1(SALU_CYCLE_1)
	v_mad_nc_u64_u32 v[0:1], s5, s2, v[4:5]
	s_delay_alu instid0(VALU_DEP_3) | instskip(NEXT) | instid1(VALU_DEP_2)
	v_cmp_gt_i64_e32 vcc_lo, s[8:9], v[2:3]
	v_cmp_gt_i64_e64 s2, s[10:11], v[0:1]
	s_and_b32 s2, vcc_lo, s2
	s_delay_alu instid0(SALU_CYCLE_1)
	s_and_saveexec_b32 s4, s2
	s_cbranch_execz .LBB60_6
; %bb.1:
	s_clause 0x1
	s_load_b256 s[4:11], s[0:1], 0x80
	s_load_b128 s[36:39], s[0:1], 0xa0
	s_bfe_u32 s2, ttmp6, 0x40014
	s_lshr_b32 s16, ttmp7, 16
	s_add_co_i32 s2, s2, 1
	v_cmp_lt_i64_e64 s17, s[12:13], 1
	s_mul_i32 s2, s16, s2
	s_bfe_u32 s18, ttmp6, 0x40008
	s_delay_alu instid0(SALU_CYCLE_1)
	s_add_co_i32 s18, s18, s2
	s_cmp_eq_u32 s3, 0
	s_cselect_b32 s34, s16, s18
	s_and_b32 vcc_lo, exec_lo, s17
	s_cbranch_vccnz .LBB60_4
; %bb.2:
	s_clause 0x3
	s_load_b256 s[16:23], s[0:1], 0x28
	s_load_b256 s[24:31], s[0:1], 0x58
	s_load_b32 s33, s[0:1], 0x20
	s_load_b96 s[40:42], s[0:1], 0x48
	s_wait_kmcnt 0x0
	s_load_b64 s[2:3], s[24:25], s34 offset:0x0 scale_offset
	v_mul_u64_e32 v[4:5], s[20:21], v[2:3]
	v_mul_u64_e32 v[6:7], s[30:31], v[0:1]
	s_bitcmp1_b32 s33, 0
	s_cselect_b32 vcc_lo, -1, 0
	s_bitcmp1_b32 s42, 0
	s_mul_u64 s[20:21], s[40:41], s[34:35]
	s_cselect_b32 s0, -1, 0
	s_lshl_b64 s[18:19], s[18:19], 4
	s_lshl_b64 s[20:21], s[20:21], 4
	s_add_nc_u64 s[16:17], s[16:17], s[18:19]
	s_lshl_b64 s[18:19], s[26:27], 4
	s_add_nc_u64 s[16:17], s[16:17], s[20:21]
	s_wait_kmcnt 0x0
	s_add_nc_u64 s[2:3], s[2:3], s[18:19]
	s_delay_alu instid0(VALU_DEP_2) | instskip(NEXT) | instid1(VALU_DEP_2)
	v_lshl_add_u64 v[8:9], v[4:5], 4, s[16:17]
	v_lshl_add_u64 v[6:7], v[6:7], 4, s[2:3]
	v_mov_b64_e32 v[4:5], 0
	s_lshl_b64 s[2:3], s[22:23], 4
	s_lshl_b64 s[16:17], s[28:29], 4
	v_add_nc_u64_e32 v[8:9], 8, v[8:9]
	v_add_nc_u64_e32 v[10:11], 8, v[6:7]
	v_mov_b64_e32 v[6:7], 0
.LBB60_3:                               ; =>This Inner Loop Header: Depth=1
	global_load_b128 v[12:15], v[8:9], off offset:-8
	flat_load_b128 v[16:19], v[10:11] offset:-8
	s_wait_xcnt 0x1
	v_add_nc_u64_e32 v[8:9], s[2:3], v[8:9]
	s_wait_xcnt 0x0
	v_add_nc_u64_e32 v[10:11], s[16:17], v[10:11]
	s_add_nc_u64 s[12:13], s[12:13], -1
	s_delay_alu instid0(SALU_CYCLE_1) | instskip(SKIP_4) | instid1(VALU_DEP_2)
	s_cmp_eq_u64 s[12:13], 0
	s_wait_loadcnt 0x1
	v_xor_b32_e32 v20, 0x80000000, v15
	s_wait_loadcnt_dscnt 0x0
	v_xor_b32_e32 v21, 0x80000000, v19
	v_cndmask_b32_e32 v15, v15, v20, vcc_lo
	s_delay_alu instid0(VALU_DEP_2) | instskip(NEXT) | instid1(VALU_DEP_1)
	v_cndmask_b32_e64 v19, v19, v21, s0
	v_mul_f64_e32 v[20:21], v[14:15], v[18:19]
	v_mul_f64_e32 v[14:15], v[14:15], v[16:17]
	s_delay_alu instid0(VALU_DEP_2) | instskip(NEXT) | instid1(VALU_DEP_2)
	v_fma_f64 v[16:17], v[12:13], v[16:17], -v[20:21]
	v_fmac_f64_e32 v[14:15], v[12:13], v[18:19]
	s_delay_alu instid0(VALU_DEP_2) | instskip(NEXT) | instid1(VALU_DEP_2)
	v_add_f64_e32 v[6:7], v[6:7], v[16:17]
	v_add_f64_e32 v[4:5], v[4:5], v[14:15]
	s_cbranch_scc0 .LBB60_3
	s_branch .LBB60_5
.LBB60_4:
	v_mov_b64_e32 v[4:5], 0
	v_mov_b64_e32 v[6:7], 0
.LBB60_5:
	s_wait_kmcnt 0x0
	v_mul_u64_e32 v[2:3], s[10:11], v[2:3]
	v_mul_u64_e32 v[0:1], s[36:37], v[0:1]
	s_load_b128 s[16:19], s[14:15], 0x0
	s_load_b128 s[0:3], s[4:5], 0x0
	s_wait_xcnt 0x0
	s_mul_u64 s[4:5], s[38:39], s[34:35]
	s_lshl_b64 s[8:9], s[8:9], 4
	s_lshl_b64 s[4:5], s[4:5], 4
	s_delay_alu instid0(SALU_CYCLE_1) | instskip(NEXT) | instid1(SALU_CYCLE_1)
	s_add_nc_u64 s[4:5], s[6:7], s[4:5]
	s_add_nc_u64 s[4:5], s[4:5], s[8:9]
	s_wait_kmcnt 0x0
	s_delay_alu instid0(VALU_DEP_3) | instskip(SKIP_1) | instid1(VALU_DEP_4)
	v_mul_f64_e32 v[10:11], s[18:19], v[4:5]
	v_mul_f64_e32 v[4:5], s[16:17], v[4:5]
	v_lshl_add_u64 v[2:3], v[2:3], 4, s[4:5]
	s_delay_alu instid0(VALU_DEP_1)
	v_lshl_add_u64 v[8:9], v[0:1], 4, v[2:3]
	global_load_b128 v[0:3], v[8:9], off
	v_fma_f64 v[10:11], s[16:17], v[6:7], -v[10:11]
	v_fmac_f64_e32 v[4:5], s[18:19], v[6:7]
	s_wait_loadcnt 0x0
	v_mul_f64_e32 v[12:13], s[2:3], v[2:3]
	v_mul_f64_e32 v[2:3], s[0:1], v[2:3]
	s_delay_alu instid0(VALU_DEP_2) | instskip(NEXT) | instid1(VALU_DEP_2)
	v_fma_f64 v[6:7], s[0:1], v[0:1], -v[12:13]
	v_fmac_f64_e32 v[2:3], s[2:3], v[0:1]
	s_delay_alu instid0(VALU_DEP_2) | instskip(NEXT) | instid1(VALU_DEP_2)
	v_add_f64_e32 v[0:1], v[10:11], v[6:7]
	v_add_f64_e32 v[2:3], v[4:5], v[2:3]
	global_store_b128 v[8:9], v[0:3], off
.LBB60_6:
	s_endpgm
	.section	.rodata,"a",@progbits
	.p2align	6, 0x0
	.amdhsa_kernel _ZN9rocsolver6v33100L11gemm_kernelI19rocblas_complex_numIdElPKS3_PS3_PKS6_S6_EEvT0_S9_S9_T1_bT2_lS9_S9_lbT3_lS9_S9_lSA_T4_lS9_S9_l
		.amdhsa_group_segment_fixed_size 0
		.amdhsa_private_segment_fixed_size 0
		.amdhsa_kernarg_size 432
		.amdhsa_user_sgpr_count 2
		.amdhsa_user_sgpr_dispatch_ptr 0
		.amdhsa_user_sgpr_queue_ptr 0
		.amdhsa_user_sgpr_kernarg_segment_ptr 1
		.amdhsa_user_sgpr_dispatch_id 0
		.amdhsa_user_sgpr_kernarg_preload_length 0
		.amdhsa_user_sgpr_kernarg_preload_offset 0
		.amdhsa_user_sgpr_private_segment_size 0
		.amdhsa_wavefront_size32 1
		.amdhsa_uses_dynamic_stack 0
		.amdhsa_enable_private_segment 0
		.amdhsa_system_sgpr_workgroup_id_x 1
		.amdhsa_system_sgpr_workgroup_id_y 1
		.amdhsa_system_sgpr_workgroup_id_z 1
		.amdhsa_system_sgpr_workgroup_info 0
		.amdhsa_system_vgpr_workitem_id 1
		.amdhsa_next_free_vgpr 22
		.amdhsa_next_free_sgpr 43
		.amdhsa_named_barrier_count 0
		.amdhsa_reserve_vcc 1
		.amdhsa_float_round_mode_32 0
		.amdhsa_float_round_mode_16_64 0
		.amdhsa_float_denorm_mode_32 3
		.amdhsa_float_denorm_mode_16_64 3
		.amdhsa_fp16_overflow 0
		.amdhsa_memory_ordered 1
		.amdhsa_forward_progress 1
		.amdhsa_inst_pref_size 6
		.amdhsa_round_robin_scheduling 0
		.amdhsa_exception_fp_ieee_invalid_op 0
		.amdhsa_exception_fp_denorm_src 0
		.amdhsa_exception_fp_ieee_div_zero 0
		.amdhsa_exception_fp_ieee_overflow 0
		.amdhsa_exception_fp_ieee_underflow 0
		.amdhsa_exception_fp_ieee_inexact 0
		.amdhsa_exception_int_div_zero 0
	.end_amdhsa_kernel
	.section	.text._ZN9rocsolver6v33100L11gemm_kernelI19rocblas_complex_numIdElPKS3_PS3_PKS6_S6_EEvT0_S9_S9_T1_bT2_lS9_S9_lbT3_lS9_S9_lSA_T4_lS9_S9_l,"axG",@progbits,_ZN9rocsolver6v33100L11gemm_kernelI19rocblas_complex_numIdElPKS3_PS3_PKS6_S6_EEvT0_S9_S9_T1_bT2_lS9_S9_lbT3_lS9_S9_lSA_T4_lS9_S9_l,comdat
.Lfunc_end60:
	.size	_ZN9rocsolver6v33100L11gemm_kernelI19rocblas_complex_numIdElPKS3_PS3_PKS6_S6_EEvT0_S9_S9_T1_bT2_lS9_S9_lbT3_lS9_S9_lSA_T4_lS9_S9_l, .Lfunc_end60-_ZN9rocsolver6v33100L11gemm_kernelI19rocblas_complex_numIdElPKS3_PS3_PKS6_S6_EEvT0_S9_S9_T1_bT2_lS9_S9_lbT3_lS9_S9_lSA_T4_lS9_S9_l
                                        ; -- End function
	.set _ZN9rocsolver6v33100L11gemm_kernelI19rocblas_complex_numIdElPKS3_PS3_PKS6_S6_EEvT0_S9_S9_T1_bT2_lS9_S9_lbT3_lS9_S9_lSA_T4_lS9_S9_l.num_vgpr, 22
	.set _ZN9rocsolver6v33100L11gemm_kernelI19rocblas_complex_numIdElPKS3_PS3_PKS6_S6_EEvT0_S9_S9_T1_bT2_lS9_S9_lbT3_lS9_S9_lSA_T4_lS9_S9_l.num_agpr, 0
	.set _ZN9rocsolver6v33100L11gemm_kernelI19rocblas_complex_numIdElPKS3_PS3_PKS6_S6_EEvT0_S9_S9_T1_bT2_lS9_S9_lbT3_lS9_S9_lSA_T4_lS9_S9_l.numbered_sgpr, 43
	.set _ZN9rocsolver6v33100L11gemm_kernelI19rocblas_complex_numIdElPKS3_PS3_PKS6_S6_EEvT0_S9_S9_T1_bT2_lS9_S9_lbT3_lS9_S9_lSA_T4_lS9_S9_l.num_named_barrier, 0
	.set _ZN9rocsolver6v33100L11gemm_kernelI19rocblas_complex_numIdElPKS3_PS3_PKS6_S6_EEvT0_S9_S9_T1_bT2_lS9_S9_lbT3_lS9_S9_lSA_T4_lS9_S9_l.private_seg_size, 0
	.set _ZN9rocsolver6v33100L11gemm_kernelI19rocblas_complex_numIdElPKS3_PS3_PKS6_S6_EEvT0_S9_S9_T1_bT2_lS9_S9_lbT3_lS9_S9_lSA_T4_lS9_S9_l.uses_vcc, 1
	.set _ZN9rocsolver6v33100L11gemm_kernelI19rocblas_complex_numIdElPKS3_PS3_PKS6_S6_EEvT0_S9_S9_T1_bT2_lS9_S9_lbT3_lS9_S9_lSA_T4_lS9_S9_l.uses_flat_scratch, 0
	.set _ZN9rocsolver6v33100L11gemm_kernelI19rocblas_complex_numIdElPKS3_PS3_PKS6_S6_EEvT0_S9_S9_T1_bT2_lS9_S9_lbT3_lS9_S9_lSA_T4_lS9_S9_l.has_dyn_sized_stack, 0
	.set _ZN9rocsolver6v33100L11gemm_kernelI19rocblas_complex_numIdElPKS3_PS3_PKS6_S6_EEvT0_S9_S9_T1_bT2_lS9_S9_lbT3_lS9_S9_lSA_T4_lS9_S9_l.has_recursion, 0
	.set _ZN9rocsolver6v33100L11gemm_kernelI19rocblas_complex_numIdElPKS3_PS3_PKS6_S6_EEvT0_S9_S9_T1_bT2_lS9_S9_lbT3_lS9_S9_lSA_T4_lS9_S9_l.has_indirect_call, 0
	.section	.AMDGPU.csdata,"",@progbits
; Kernel info:
; codeLenInByte = 732
; TotalNumSgprs: 45
; NumVgprs: 22
; ScratchSize: 0
; MemoryBound: 0
; FloatMode: 240
; IeeeMode: 1
; LDSByteSize: 0 bytes/workgroup (compile time only)
; SGPRBlocks: 0
; VGPRBlocks: 1
; NumSGPRsForWavesPerEU: 45
; NumVGPRsForWavesPerEU: 22
; NamedBarCnt: 0
; Occupancy: 16
; WaveLimiterHint : 0
; COMPUTE_PGM_RSRC2:SCRATCH_EN: 0
; COMPUTE_PGM_RSRC2:USER_SGPR: 2
; COMPUTE_PGM_RSRC2:TRAP_HANDLER: 0
; COMPUTE_PGM_RSRC2:TGID_X_EN: 1
; COMPUTE_PGM_RSRC2:TGID_Y_EN: 1
; COMPUTE_PGM_RSRC2:TGID_Z_EN: 1
; COMPUTE_PGM_RSRC2:TIDIG_COMP_CNT: 1
	.section	.text._ZN9rocsolver6v33100L11gemm_kernelI19rocblas_complex_numIdElS3_PS3_PKS4_S4_EEvT0_S7_S7_T1_bT2_lS7_S7_lbT3_lS7_S7_lS8_T4_lS7_S7_l,"axG",@progbits,_ZN9rocsolver6v33100L11gemm_kernelI19rocblas_complex_numIdElS3_PS3_PKS4_S4_EEvT0_S7_S7_T1_bT2_lS7_S7_lbT3_lS7_S7_lS8_T4_lS7_S7_l,comdat
	.globl	_ZN9rocsolver6v33100L11gemm_kernelI19rocblas_complex_numIdElS3_PS3_PKS4_S4_EEvT0_S7_S7_T1_bT2_lS7_S7_lbT3_lS7_S7_lS8_T4_lS7_S7_l ; -- Begin function _ZN9rocsolver6v33100L11gemm_kernelI19rocblas_complex_numIdElS3_PS3_PKS4_S4_EEvT0_S7_S7_T1_bT2_lS7_S7_lbT3_lS7_S7_lS8_T4_lS7_S7_l
	.p2align	8
	.type	_ZN9rocsolver6v33100L11gemm_kernelI19rocblas_complex_numIdElS3_PS3_PKS4_S4_EEvT0_S7_S7_T1_bT2_lS7_S7_lbT3_lS7_S7_lS8_T4_lS7_S7_l,@function
_ZN9rocsolver6v33100L11gemm_kernelI19rocblas_complex_numIdElS3_PS3_PKS4_S4_EEvT0_S7_S7_T1_bT2_lS7_S7_lbT3_lS7_S7_lS8_T4_lS7_S7_l: ; @_ZN9rocsolver6v33100L11gemm_kernelI19rocblas_complex_numIdElS3_PS3_PKS4_S4_EEvT0_S7_S7_T1_bT2_lS7_S7_lbT3_lS7_S7_lS8_T4_lS7_S7_l
; %bb.0:
	s_load_b32 s2, s[0:1], 0xcc
	s_bfe_u32 s12, ttmp6, 0x40010
	s_bfe_u32 s15, ttmp6, 0x4000c
	s_and_b32 s3, ttmp7, 0xffff
	s_add_co_i32 s12, s12, 1
	s_add_co_i32 s15, s15, 1
	s_bfe_u32 s13, ttmp6, 0x40004
	s_and_b32 s14, ttmp6, 15
	s_mul_i32 s12, s3, s12
	s_mul_i32 s15, ttmp9, s15
	s_getreg_b32 s20, hwreg(HW_REG_IB_STS2, 6, 4)
	v_mov_b32_e32 v5, 0
	v_and_b32_e32 v4, 0x3ff, v0
	s_add_co_i32 s13, s13, s12
	s_add_co_i32 s14, s14, s15
	s_load_b256 s[4:11], s[0:1], 0x0
	s_mov_b32 s29, 0
	s_wait_kmcnt 0x0
	s_lshr_b32 s12, s2, 16
	s_and_b32 s2, s2, 0xffff
	s_cmp_eq_u32 s20, 0
	s_cselect_b32 s14, ttmp9, s14
	s_delay_alu instid0(SALU_CYCLE_1)
	v_mad_nc_u64_u32 v[2:3], s2, s14, v[4:5]
	v_bfe_u32 v4, v0, 10, 10
	s_cselect_b32 s2, s3, s13
	s_delay_alu instid0(VALU_DEP_1) | instid1(SALU_CYCLE_1)
	v_mad_nc_u64_u32 v[0:1], s12, s2, v[4:5]
	s_delay_alu instid0(VALU_DEP_3) | instskip(NEXT) | instid1(VALU_DEP_2)
	v_cmp_gt_i64_e32 vcc_lo, s[4:5], v[2:3]
	v_cmp_gt_i64_e64 s2, s[6:7], v[0:1]
	s_and_b32 s2, vcc_lo, s2
	s_delay_alu instid0(SALU_CYCLE_1)
	s_and_saveexec_b32 s3, s2
	s_cbranch_execz .LBB61_6
; %bb.1:
	s_clause 0x3
	s_load_b64 s[2:3], s[0:1], 0x20
	s_load_b256 s[12:19], s[0:1], 0x88
	s_load_b128 s[4:7], s[0:1], 0xa8
	s_load_b64 s[30:31], s[0:1], 0xb8
	s_bfe_u32 s21, ttmp6, 0x40014
	s_lshr_b32 s22, ttmp7, 16
	s_add_co_i32 s21, s21, 1
	v_cmp_lt_i64_e64 s23, s[8:9], 1
	s_mul_i32 s21, s22, s21
	s_bfe_u32 s24, ttmp6, 0x40008
	s_delay_alu instid0(SALU_CYCLE_1)
	s_add_co_i32 s24, s24, s21
	s_cmp_eq_u32 s20, 0
	s_cselect_b32 s28, s22, s24
	s_and_b32 vcc_lo, exec_lo, s23
	s_cbranch_vccnz .LBB61_4
; %bb.2:
	s_clause 0x2
	s_load_b256 s[20:27], s[0:1], 0x30
	s_load_b256 s[36:43], s[0:1], 0x60
	s_load_b32 s33, s[0:1], 0x28
	s_wait_kmcnt 0x0
	v_mul_u64_e32 v[4:5], s[24:25], v[2:3]
	v_mul_u64_e32 v[6:7], s[42:43], v[0:1]
	s_load_b96 s[44:46], s[0:1], 0x50
	s_load_b64 s[24:25], s[36:37], s28 offset:0x0 scale_offset
	s_bitcmp1_b32 s33, 0
	s_cselect_b32 vcc_lo, -1, 0
	s_wait_kmcnt 0x0
	s_bitcmp1_b32 s46, 0
	s_mul_u64 s[34:35], s[44:45], s[28:29]
	s_cselect_b32 s0, -1, 0
	s_lshl_b64 s[22:23], s[22:23], 4
	s_lshl_b64 s[34:35], s[34:35], 4
	s_add_nc_u64 s[20:21], s[20:21], s[22:23]
	s_lshl_b64 s[22:23], s[38:39], 4
	s_add_nc_u64 s[20:21], s[20:21], s[34:35]
	s_add_nc_u64 s[22:23], s[24:25], s[22:23]
	s_delay_alu instid0(VALU_DEP_2) | instskip(NEXT) | instid1(VALU_DEP_2)
	v_lshl_add_u64 v[8:9], v[4:5], 4, s[20:21]
	v_lshl_add_u64 v[6:7], v[6:7], 4, s[22:23]
	v_mov_b64_e32 v[4:5], 0
	s_lshl_b64 s[20:21], s[26:27], 4
	s_lshl_b64 s[22:23], s[40:41], 4
	v_add_nc_u64_e32 v[8:9], 8, v[8:9]
	v_add_nc_u64_e32 v[10:11], 8, v[6:7]
	v_mov_b64_e32 v[6:7], 0
.LBB61_3:                               ; =>This Inner Loop Header: Depth=1
	global_load_b128 v[12:15], v[8:9], off offset:-8
	flat_load_b128 v[16:19], v[10:11] offset:-8
	s_wait_xcnt 0x1
	v_add_nc_u64_e32 v[8:9], s[20:21], v[8:9]
	s_wait_xcnt 0x0
	v_add_nc_u64_e32 v[10:11], s[22:23], v[10:11]
	s_add_nc_u64 s[8:9], s[8:9], -1
	s_delay_alu instid0(SALU_CYCLE_1) | instskip(SKIP_4) | instid1(VALU_DEP_2)
	s_cmp_eq_u64 s[8:9], 0
	s_wait_loadcnt 0x1
	v_xor_b32_e32 v20, 0x80000000, v15
	s_wait_loadcnt_dscnt 0x0
	v_xor_b32_e32 v21, 0x80000000, v19
	v_cndmask_b32_e32 v15, v15, v20, vcc_lo
	s_delay_alu instid0(VALU_DEP_2) | instskip(NEXT) | instid1(VALU_DEP_1)
	v_cndmask_b32_e64 v19, v19, v21, s0
	v_mul_f64_e32 v[20:21], v[14:15], v[18:19]
	v_mul_f64_e32 v[14:15], v[14:15], v[16:17]
	s_delay_alu instid0(VALU_DEP_2) | instskip(NEXT) | instid1(VALU_DEP_2)
	v_fma_f64 v[16:17], v[12:13], v[16:17], -v[20:21]
	v_fmac_f64_e32 v[14:15], v[12:13], v[18:19]
	s_delay_alu instid0(VALU_DEP_2) | instskip(NEXT) | instid1(VALU_DEP_2)
	v_add_f64_e32 v[6:7], v[6:7], v[16:17]
	v_add_f64_e32 v[4:5], v[4:5], v[14:15]
	s_cbranch_scc0 .LBB61_3
	s_branch .LBB61_5
.LBB61_4:
	v_mov_b64_e32 v[4:5], 0
	v_mov_b64_e32 v[6:7], 0
.LBB61_5:
	s_wait_kmcnt 0x0
	v_mul_u64_e32 v[2:3], s[4:5], v[2:3]
	v_mul_u64_e32 v[0:1], s[6:7], v[0:1]
	s_mul_u64 s[0:1], s[30:31], s[28:29]
	s_lshl_b64 s[4:5], s[18:19], 4
	s_lshl_b64 s[0:1], s[0:1], 4
	s_delay_alu instid0(VALU_DEP_3)
	v_mul_f64_e32 v[10:11], s[2:3], v[4:5]
	s_add_nc_u64 s[0:1], s[16:17], s[0:1]
	v_mul_f64_e32 v[4:5], s[10:11], v[4:5]
	s_add_nc_u64 s[0:1], s[0:1], s[4:5]
	s_delay_alu instid0(VALU_DEP_4) | instid1(SALU_CYCLE_1)
	v_lshl_add_u64 v[2:3], v[2:3], 4, s[0:1]
	s_delay_alu instid0(VALU_DEP_3) | instskip(NEXT) | instid1(VALU_DEP_2)
	v_fma_f64 v[10:11], s[10:11], v[6:7], -v[10:11]
	v_lshl_add_u64 v[8:9], v[0:1], 4, v[2:3]
	s_delay_alu instid0(VALU_DEP_4) | instskip(SKIP_4) | instid1(VALU_DEP_2)
	v_fmac_f64_e32 v[4:5], s[2:3], v[6:7]
	global_load_b128 v[0:3], v[8:9], off
	s_wait_loadcnt 0x0
	v_mul_f64_e32 v[12:13], s[14:15], v[2:3]
	v_mul_f64_e32 v[2:3], s[12:13], v[2:3]
	v_fma_f64 v[6:7], s[12:13], v[0:1], -v[12:13]
	s_delay_alu instid0(VALU_DEP_2) | instskip(NEXT) | instid1(VALU_DEP_2)
	v_fmac_f64_e32 v[2:3], s[14:15], v[0:1]
	v_add_f64_e32 v[0:1], v[10:11], v[6:7]
	s_delay_alu instid0(VALU_DEP_2)
	v_add_f64_e32 v[2:3], v[4:5], v[2:3]
	global_store_b128 v[8:9], v[0:3], off
.LBB61_6:
	s_endpgm
	.section	.rodata,"a",@progbits
	.p2align	6, 0x0
	.amdhsa_kernel _ZN9rocsolver6v33100L11gemm_kernelI19rocblas_complex_numIdElS3_PS3_PKS4_S4_EEvT0_S7_S7_T1_bT2_lS7_S7_lbT3_lS7_S7_lS8_T4_lS7_S7_l
		.amdhsa_group_segment_fixed_size 0
		.amdhsa_private_segment_fixed_size 0
		.amdhsa_kernarg_size 448
		.amdhsa_user_sgpr_count 2
		.amdhsa_user_sgpr_dispatch_ptr 0
		.amdhsa_user_sgpr_queue_ptr 0
		.amdhsa_user_sgpr_kernarg_segment_ptr 1
		.amdhsa_user_sgpr_dispatch_id 0
		.amdhsa_user_sgpr_kernarg_preload_length 0
		.amdhsa_user_sgpr_kernarg_preload_offset 0
		.amdhsa_user_sgpr_private_segment_size 0
		.amdhsa_wavefront_size32 1
		.amdhsa_uses_dynamic_stack 0
		.amdhsa_enable_private_segment 0
		.amdhsa_system_sgpr_workgroup_id_x 1
		.amdhsa_system_sgpr_workgroup_id_y 1
		.amdhsa_system_sgpr_workgroup_id_z 1
		.amdhsa_system_sgpr_workgroup_info 0
		.amdhsa_system_vgpr_workitem_id 1
		.amdhsa_next_free_vgpr 22
		.amdhsa_next_free_sgpr 47
		.amdhsa_named_barrier_count 0
		.amdhsa_reserve_vcc 1
		.amdhsa_float_round_mode_32 0
		.amdhsa_float_round_mode_16_64 0
		.amdhsa_float_denorm_mode_32 3
		.amdhsa_float_denorm_mode_16_64 3
		.amdhsa_fp16_overflow 0
		.amdhsa_memory_ordered 1
		.amdhsa_forward_progress 1
		.amdhsa_inst_pref_size 6
		.amdhsa_round_robin_scheduling 0
		.amdhsa_exception_fp_ieee_invalid_op 0
		.amdhsa_exception_fp_denorm_src 0
		.amdhsa_exception_fp_ieee_div_zero 0
		.amdhsa_exception_fp_ieee_overflow 0
		.amdhsa_exception_fp_ieee_underflow 0
		.amdhsa_exception_fp_ieee_inexact 0
		.amdhsa_exception_int_div_zero 0
	.end_amdhsa_kernel
	.section	.text._ZN9rocsolver6v33100L11gemm_kernelI19rocblas_complex_numIdElS3_PS3_PKS4_S4_EEvT0_S7_S7_T1_bT2_lS7_S7_lbT3_lS7_S7_lS8_T4_lS7_S7_l,"axG",@progbits,_ZN9rocsolver6v33100L11gemm_kernelI19rocblas_complex_numIdElS3_PS3_PKS4_S4_EEvT0_S7_S7_T1_bT2_lS7_S7_lbT3_lS7_S7_lS8_T4_lS7_S7_l,comdat
.Lfunc_end61:
	.size	_ZN9rocsolver6v33100L11gemm_kernelI19rocblas_complex_numIdElS3_PS3_PKS4_S4_EEvT0_S7_S7_T1_bT2_lS7_S7_lbT3_lS7_S7_lS8_T4_lS7_S7_l, .Lfunc_end61-_ZN9rocsolver6v33100L11gemm_kernelI19rocblas_complex_numIdElS3_PS3_PKS4_S4_EEvT0_S7_S7_T1_bT2_lS7_S7_lbT3_lS7_S7_lS8_T4_lS7_S7_l
                                        ; -- End function
	.set _ZN9rocsolver6v33100L11gemm_kernelI19rocblas_complex_numIdElS3_PS3_PKS4_S4_EEvT0_S7_S7_T1_bT2_lS7_S7_lbT3_lS7_S7_lS8_T4_lS7_S7_l.num_vgpr, 22
	.set _ZN9rocsolver6v33100L11gemm_kernelI19rocblas_complex_numIdElS3_PS3_PKS4_S4_EEvT0_S7_S7_T1_bT2_lS7_S7_lbT3_lS7_S7_lS8_T4_lS7_S7_l.num_agpr, 0
	.set _ZN9rocsolver6v33100L11gemm_kernelI19rocblas_complex_numIdElS3_PS3_PKS4_S4_EEvT0_S7_S7_T1_bT2_lS7_S7_lbT3_lS7_S7_lS8_T4_lS7_S7_l.numbered_sgpr, 47
	.set _ZN9rocsolver6v33100L11gemm_kernelI19rocblas_complex_numIdElS3_PS3_PKS4_S4_EEvT0_S7_S7_T1_bT2_lS7_S7_lbT3_lS7_S7_lS8_T4_lS7_S7_l.num_named_barrier, 0
	.set _ZN9rocsolver6v33100L11gemm_kernelI19rocblas_complex_numIdElS3_PS3_PKS4_S4_EEvT0_S7_S7_T1_bT2_lS7_S7_lbT3_lS7_S7_lS8_T4_lS7_S7_l.private_seg_size, 0
	.set _ZN9rocsolver6v33100L11gemm_kernelI19rocblas_complex_numIdElS3_PS3_PKS4_S4_EEvT0_S7_S7_T1_bT2_lS7_S7_lbT3_lS7_S7_lS8_T4_lS7_S7_l.uses_vcc, 1
	.set _ZN9rocsolver6v33100L11gemm_kernelI19rocblas_complex_numIdElS3_PS3_PKS4_S4_EEvT0_S7_S7_T1_bT2_lS7_S7_lbT3_lS7_S7_lS8_T4_lS7_S7_l.uses_flat_scratch, 0
	.set _ZN9rocsolver6v33100L11gemm_kernelI19rocblas_complex_numIdElS3_PS3_PKS4_S4_EEvT0_S7_S7_T1_bT2_lS7_S7_lbT3_lS7_S7_lS8_T4_lS7_S7_l.has_dyn_sized_stack, 0
	.set _ZN9rocsolver6v33100L11gemm_kernelI19rocblas_complex_numIdElS3_PS3_PKS4_S4_EEvT0_S7_S7_T1_bT2_lS7_S7_lbT3_lS7_S7_lS8_T4_lS7_S7_l.has_recursion, 0
	.set _ZN9rocsolver6v33100L11gemm_kernelI19rocblas_complex_numIdElS3_PS3_PKS4_S4_EEvT0_S7_S7_T1_bT2_lS7_S7_lbT3_lS7_S7_lS8_T4_lS7_S7_l.has_indirect_call, 0
	.section	.AMDGPU.csdata,"",@progbits
; Kernel info:
; codeLenInByte = 728
; TotalNumSgprs: 49
; NumVgprs: 22
; ScratchSize: 0
; MemoryBound: 0
; FloatMode: 240
; IeeeMode: 1
; LDSByteSize: 0 bytes/workgroup (compile time only)
; SGPRBlocks: 0
; VGPRBlocks: 1
; NumSGPRsForWavesPerEU: 49
; NumVGPRsForWavesPerEU: 22
; NamedBarCnt: 0
; Occupancy: 16
; WaveLimiterHint : 0
; COMPUTE_PGM_RSRC2:SCRATCH_EN: 0
; COMPUTE_PGM_RSRC2:USER_SGPR: 2
; COMPUTE_PGM_RSRC2:TRAP_HANDLER: 0
; COMPUTE_PGM_RSRC2:TGID_X_EN: 1
; COMPUTE_PGM_RSRC2:TGID_Y_EN: 1
; COMPUTE_PGM_RSRC2:TGID_Z_EN: 1
; COMPUTE_PGM_RSRC2:TIDIG_COMP_CNT: 1
	.section	.text._ZN9rocsolver6v33100L16mfma_gemm_kernelI19rocblas_complex_numIdElPKS3_PS3_S6_PKS6_EEv18rocblas_operation_S9_T0_SA_SA_T1_T2_lSA_SA_lT3_lSA_SA_lSB_T4_lSA_SA_l,"axG",@progbits,_ZN9rocsolver6v33100L16mfma_gemm_kernelI19rocblas_complex_numIdElPKS3_PS3_S6_PKS6_EEv18rocblas_operation_S9_T0_SA_SA_T1_T2_lSA_SA_lT3_lSA_SA_lSB_T4_lSA_SA_l,comdat
	.globl	_ZN9rocsolver6v33100L16mfma_gemm_kernelI19rocblas_complex_numIdElPKS3_PS3_S6_PKS6_EEv18rocblas_operation_S9_T0_SA_SA_T1_T2_lSA_SA_lT3_lSA_SA_lSB_T4_lSA_SA_l ; -- Begin function _ZN9rocsolver6v33100L16mfma_gemm_kernelI19rocblas_complex_numIdElPKS3_PS3_S6_PKS6_EEv18rocblas_operation_S9_T0_SA_SA_T1_T2_lSA_SA_lT3_lSA_SA_lSB_T4_lSA_SA_l
	.p2align	8
	.type	_ZN9rocsolver6v33100L16mfma_gemm_kernelI19rocblas_complex_numIdElPKS3_PS3_S6_PKS6_EEv18rocblas_operation_S9_T0_SA_SA_T1_T2_lSA_SA_lT3_lSA_SA_lSB_T4_lSA_SA_l,@function
_ZN9rocsolver6v33100L16mfma_gemm_kernelI19rocblas_complex_numIdElPKS3_PS3_S6_PKS6_EEv18rocblas_operation_S9_T0_SA_SA_T1_T2_lSA_SA_lT3_lSA_SA_lSB_T4_lSA_SA_l: ; @_ZN9rocsolver6v33100L16mfma_gemm_kernelI19rocblas_complex_numIdElPKS3_PS3_S6_PKS6_EEv18rocblas_operation_S9_T0_SA_SA_T1_T2_lSA_SA_lT3_lSA_SA_lSB_T4_lSA_SA_l
; %bb.0:
	s_endpgm
	.section	.rodata,"a",@progbits
	.p2align	6, 0x0
	.amdhsa_kernel _ZN9rocsolver6v33100L16mfma_gemm_kernelI19rocblas_complex_numIdElPKS3_PS3_S6_PKS6_EEv18rocblas_operation_S9_T0_SA_SA_T1_T2_lSA_SA_lT3_lSA_SA_lSB_T4_lSA_SA_l
		.amdhsa_group_segment_fixed_size 0
		.amdhsa_private_segment_fixed_size 0
		.amdhsa_kernarg_size 168
		.amdhsa_user_sgpr_count 2
		.amdhsa_user_sgpr_dispatch_ptr 0
		.amdhsa_user_sgpr_queue_ptr 0
		.amdhsa_user_sgpr_kernarg_segment_ptr 1
		.amdhsa_user_sgpr_dispatch_id 0
		.amdhsa_user_sgpr_kernarg_preload_length 0
		.amdhsa_user_sgpr_kernarg_preload_offset 0
		.amdhsa_user_sgpr_private_segment_size 0
		.amdhsa_wavefront_size32 1
		.amdhsa_uses_dynamic_stack 0
		.amdhsa_enable_private_segment 0
		.amdhsa_system_sgpr_workgroup_id_x 1
		.amdhsa_system_sgpr_workgroup_id_y 0
		.amdhsa_system_sgpr_workgroup_id_z 0
		.amdhsa_system_sgpr_workgroup_info 0
		.amdhsa_system_vgpr_workitem_id 0
		.amdhsa_next_free_vgpr 1
		.amdhsa_next_free_sgpr 1
		.amdhsa_named_barrier_count 0
		.amdhsa_reserve_vcc 0
		.amdhsa_float_round_mode_32 0
		.amdhsa_float_round_mode_16_64 0
		.amdhsa_float_denorm_mode_32 3
		.amdhsa_float_denorm_mode_16_64 3
		.amdhsa_fp16_overflow 0
		.amdhsa_memory_ordered 1
		.amdhsa_forward_progress 1
		.amdhsa_inst_pref_size 1
		.amdhsa_round_robin_scheduling 0
		.amdhsa_exception_fp_ieee_invalid_op 0
		.amdhsa_exception_fp_denorm_src 0
		.amdhsa_exception_fp_ieee_div_zero 0
		.amdhsa_exception_fp_ieee_overflow 0
		.amdhsa_exception_fp_ieee_underflow 0
		.amdhsa_exception_fp_ieee_inexact 0
		.amdhsa_exception_int_div_zero 0
	.end_amdhsa_kernel
	.section	.text._ZN9rocsolver6v33100L16mfma_gemm_kernelI19rocblas_complex_numIdElPKS3_PS3_S6_PKS6_EEv18rocblas_operation_S9_T0_SA_SA_T1_T2_lSA_SA_lT3_lSA_SA_lSB_T4_lSA_SA_l,"axG",@progbits,_ZN9rocsolver6v33100L16mfma_gemm_kernelI19rocblas_complex_numIdElPKS3_PS3_S6_PKS6_EEv18rocblas_operation_S9_T0_SA_SA_T1_T2_lSA_SA_lT3_lSA_SA_lSB_T4_lSA_SA_l,comdat
.Lfunc_end62:
	.size	_ZN9rocsolver6v33100L16mfma_gemm_kernelI19rocblas_complex_numIdElPKS3_PS3_S6_PKS6_EEv18rocblas_operation_S9_T0_SA_SA_T1_T2_lSA_SA_lT3_lSA_SA_lSB_T4_lSA_SA_l, .Lfunc_end62-_ZN9rocsolver6v33100L16mfma_gemm_kernelI19rocblas_complex_numIdElPKS3_PS3_S6_PKS6_EEv18rocblas_operation_S9_T0_SA_SA_T1_T2_lSA_SA_lT3_lSA_SA_lSB_T4_lSA_SA_l
                                        ; -- End function
	.set _ZN9rocsolver6v33100L16mfma_gemm_kernelI19rocblas_complex_numIdElPKS3_PS3_S6_PKS6_EEv18rocblas_operation_S9_T0_SA_SA_T1_T2_lSA_SA_lT3_lSA_SA_lSB_T4_lSA_SA_l.num_vgpr, 0
	.set _ZN9rocsolver6v33100L16mfma_gemm_kernelI19rocblas_complex_numIdElPKS3_PS3_S6_PKS6_EEv18rocblas_operation_S9_T0_SA_SA_T1_T2_lSA_SA_lT3_lSA_SA_lSB_T4_lSA_SA_l.num_agpr, 0
	.set _ZN9rocsolver6v33100L16mfma_gemm_kernelI19rocblas_complex_numIdElPKS3_PS3_S6_PKS6_EEv18rocblas_operation_S9_T0_SA_SA_T1_T2_lSA_SA_lT3_lSA_SA_lSB_T4_lSA_SA_l.numbered_sgpr, 0
	.set _ZN9rocsolver6v33100L16mfma_gemm_kernelI19rocblas_complex_numIdElPKS3_PS3_S6_PKS6_EEv18rocblas_operation_S9_T0_SA_SA_T1_T2_lSA_SA_lT3_lSA_SA_lSB_T4_lSA_SA_l.num_named_barrier, 0
	.set _ZN9rocsolver6v33100L16mfma_gemm_kernelI19rocblas_complex_numIdElPKS3_PS3_S6_PKS6_EEv18rocblas_operation_S9_T0_SA_SA_T1_T2_lSA_SA_lT3_lSA_SA_lSB_T4_lSA_SA_l.private_seg_size, 0
	.set _ZN9rocsolver6v33100L16mfma_gemm_kernelI19rocblas_complex_numIdElPKS3_PS3_S6_PKS6_EEv18rocblas_operation_S9_T0_SA_SA_T1_T2_lSA_SA_lT3_lSA_SA_lSB_T4_lSA_SA_l.uses_vcc, 0
	.set _ZN9rocsolver6v33100L16mfma_gemm_kernelI19rocblas_complex_numIdElPKS3_PS3_S6_PKS6_EEv18rocblas_operation_S9_T0_SA_SA_T1_T2_lSA_SA_lT3_lSA_SA_lSB_T4_lSA_SA_l.uses_flat_scratch, 0
	.set _ZN9rocsolver6v33100L16mfma_gemm_kernelI19rocblas_complex_numIdElPKS3_PS3_S6_PKS6_EEv18rocblas_operation_S9_T0_SA_SA_T1_T2_lSA_SA_lT3_lSA_SA_lSB_T4_lSA_SA_l.has_dyn_sized_stack, 0
	.set _ZN9rocsolver6v33100L16mfma_gemm_kernelI19rocblas_complex_numIdElPKS3_PS3_S6_PKS6_EEv18rocblas_operation_S9_T0_SA_SA_T1_T2_lSA_SA_lT3_lSA_SA_lSB_T4_lSA_SA_l.has_recursion, 0
	.set _ZN9rocsolver6v33100L16mfma_gemm_kernelI19rocblas_complex_numIdElPKS3_PS3_S6_PKS6_EEv18rocblas_operation_S9_T0_SA_SA_T1_T2_lSA_SA_lT3_lSA_SA_lSB_T4_lSA_SA_l.has_indirect_call, 0
	.section	.AMDGPU.csdata,"",@progbits
; Kernel info:
; codeLenInByte = 4
; TotalNumSgprs: 0
; NumVgprs: 0
; ScratchSize: 0
; MemoryBound: 0
; FloatMode: 240
; IeeeMode: 1
; LDSByteSize: 0 bytes/workgroup (compile time only)
; SGPRBlocks: 0
; VGPRBlocks: 0
; NumSGPRsForWavesPerEU: 1
; NumVGPRsForWavesPerEU: 1
; NamedBarCnt: 0
; Occupancy: 16
; WaveLimiterHint : 0
; COMPUTE_PGM_RSRC2:SCRATCH_EN: 0
; COMPUTE_PGM_RSRC2:USER_SGPR: 2
; COMPUTE_PGM_RSRC2:TRAP_HANDLER: 0
; COMPUTE_PGM_RSRC2:TGID_X_EN: 1
; COMPUTE_PGM_RSRC2:TGID_Y_EN: 0
; COMPUTE_PGM_RSRC2:TGID_Z_EN: 0
; COMPUTE_PGM_RSRC2:TIDIG_COMP_CNT: 0
	.section	.text._ZN9rocsolver6v33100L16mfma_gemm_kernelI19rocblas_complex_numIdElS3_PS3_S4_PKS4_EEv18rocblas_operation_S7_T0_S8_S8_T1_T2_lS8_S8_lT3_lS8_S8_lS9_T4_lS8_S8_l,"axG",@progbits,_ZN9rocsolver6v33100L16mfma_gemm_kernelI19rocblas_complex_numIdElS3_PS3_S4_PKS4_EEv18rocblas_operation_S7_T0_S8_S8_T1_T2_lS8_S8_lT3_lS8_S8_lS9_T4_lS8_S8_l,comdat
	.globl	_ZN9rocsolver6v33100L16mfma_gemm_kernelI19rocblas_complex_numIdElS3_PS3_S4_PKS4_EEv18rocblas_operation_S7_T0_S8_S8_T1_T2_lS8_S8_lT3_lS8_S8_lS9_T4_lS8_S8_l ; -- Begin function _ZN9rocsolver6v33100L16mfma_gemm_kernelI19rocblas_complex_numIdElS3_PS3_S4_PKS4_EEv18rocblas_operation_S7_T0_S8_S8_T1_T2_lS8_S8_lT3_lS8_S8_lS9_T4_lS8_S8_l
	.p2align	8
	.type	_ZN9rocsolver6v33100L16mfma_gemm_kernelI19rocblas_complex_numIdElS3_PS3_S4_PKS4_EEv18rocblas_operation_S7_T0_S8_S8_T1_T2_lS8_S8_lT3_lS8_S8_lS9_T4_lS8_S8_l,@function
_ZN9rocsolver6v33100L16mfma_gemm_kernelI19rocblas_complex_numIdElS3_PS3_S4_PKS4_EEv18rocblas_operation_S7_T0_S8_S8_T1_T2_lS8_S8_lT3_lS8_S8_lS9_T4_lS8_S8_l: ; @_ZN9rocsolver6v33100L16mfma_gemm_kernelI19rocblas_complex_numIdElS3_PS3_S4_PKS4_EEv18rocblas_operation_S7_T0_S8_S8_T1_T2_lS8_S8_lT3_lS8_S8_lS9_T4_lS8_S8_l
; %bb.0:
	s_endpgm
	.section	.rodata,"a",@progbits
	.p2align	6, 0x0
	.amdhsa_kernel _ZN9rocsolver6v33100L16mfma_gemm_kernelI19rocblas_complex_numIdElS3_PS3_S4_PKS4_EEv18rocblas_operation_S7_T0_S8_S8_T1_T2_lS8_S8_lT3_lS8_S8_lS9_T4_lS8_S8_l
		.amdhsa_group_segment_fixed_size 0
		.amdhsa_private_segment_fixed_size 0
		.amdhsa_kernarg_size 184
		.amdhsa_user_sgpr_count 2
		.amdhsa_user_sgpr_dispatch_ptr 0
		.amdhsa_user_sgpr_queue_ptr 0
		.amdhsa_user_sgpr_kernarg_segment_ptr 1
		.amdhsa_user_sgpr_dispatch_id 0
		.amdhsa_user_sgpr_kernarg_preload_length 0
		.amdhsa_user_sgpr_kernarg_preload_offset 0
		.amdhsa_user_sgpr_private_segment_size 0
		.amdhsa_wavefront_size32 1
		.amdhsa_uses_dynamic_stack 0
		.amdhsa_enable_private_segment 0
		.amdhsa_system_sgpr_workgroup_id_x 1
		.amdhsa_system_sgpr_workgroup_id_y 0
		.amdhsa_system_sgpr_workgroup_id_z 0
		.amdhsa_system_sgpr_workgroup_info 0
		.amdhsa_system_vgpr_workitem_id 0
		.amdhsa_next_free_vgpr 1
		.amdhsa_next_free_sgpr 1
		.amdhsa_named_barrier_count 0
		.amdhsa_reserve_vcc 0
		.amdhsa_float_round_mode_32 0
		.amdhsa_float_round_mode_16_64 0
		.amdhsa_float_denorm_mode_32 3
		.amdhsa_float_denorm_mode_16_64 3
		.amdhsa_fp16_overflow 0
		.amdhsa_memory_ordered 1
		.amdhsa_forward_progress 1
		.amdhsa_inst_pref_size 1
		.amdhsa_round_robin_scheduling 0
		.amdhsa_exception_fp_ieee_invalid_op 0
		.amdhsa_exception_fp_denorm_src 0
		.amdhsa_exception_fp_ieee_div_zero 0
		.amdhsa_exception_fp_ieee_overflow 0
		.amdhsa_exception_fp_ieee_underflow 0
		.amdhsa_exception_fp_ieee_inexact 0
		.amdhsa_exception_int_div_zero 0
	.end_amdhsa_kernel
	.section	.text._ZN9rocsolver6v33100L16mfma_gemm_kernelI19rocblas_complex_numIdElS3_PS3_S4_PKS4_EEv18rocblas_operation_S7_T0_S8_S8_T1_T2_lS8_S8_lT3_lS8_S8_lS9_T4_lS8_S8_l,"axG",@progbits,_ZN9rocsolver6v33100L16mfma_gemm_kernelI19rocblas_complex_numIdElS3_PS3_S4_PKS4_EEv18rocblas_operation_S7_T0_S8_S8_T1_T2_lS8_S8_lT3_lS8_S8_lS9_T4_lS8_S8_l,comdat
.Lfunc_end63:
	.size	_ZN9rocsolver6v33100L16mfma_gemm_kernelI19rocblas_complex_numIdElS3_PS3_S4_PKS4_EEv18rocblas_operation_S7_T0_S8_S8_T1_T2_lS8_S8_lT3_lS8_S8_lS9_T4_lS8_S8_l, .Lfunc_end63-_ZN9rocsolver6v33100L16mfma_gemm_kernelI19rocblas_complex_numIdElS3_PS3_S4_PKS4_EEv18rocblas_operation_S7_T0_S8_S8_T1_T2_lS8_S8_lT3_lS8_S8_lS9_T4_lS8_S8_l
                                        ; -- End function
	.set _ZN9rocsolver6v33100L16mfma_gemm_kernelI19rocblas_complex_numIdElS3_PS3_S4_PKS4_EEv18rocblas_operation_S7_T0_S8_S8_T1_T2_lS8_S8_lT3_lS8_S8_lS9_T4_lS8_S8_l.num_vgpr, 0
	.set _ZN9rocsolver6v33100L16mfma_gemm_kernelI19rocblas_complex_numIdElS3_PS3_S4_PKS4_EEv18rocblas_operation_S7_T0_S8_S8_T1_T2_lS8_S8_lT3_lS8_S8_lS9_T4_lS8_S8_l.num_agpr, 0
	.set _ZN9rocsolver6v33100L16mfma_gemm_kernelI19rocblas_complex_numIdElS3_PS3_S4_PKS4_EEv18rocblas_operation_S7_T0_S8_S8_T1_T2_lS8_S8_lT3_lS8_S8_lS9_T4_lS8_S8_l.numbered_sgpr, 0
	.set _ZN9rocsolver6v33100L16mfma_gemm_kernelI19rocblas_complex_numIdElS3_PS3_S4_PKS4_EEv18rocblas_operation_S7_T0_S8_S8_T1_T2_lS8_S8_lT3_lS8_S8_lS9_T4_lS8_S8_l.num_named_barrier, 0
	.set _ZN9rocsolver6v33100L16mfma_gemm_kernelI19rocblas_complex_numIdElS3_PS3_S4_PKS4_EEv18rocblas_operation_S7_T0_S8_S8_T1_T2_lS8_S8_lT3_lS8_S8_lS9_T4_lS8_S8_l.private_seg_size, 0
	.set _ZN9rocsolver6v33100L16mfma_gemm_kernelI19rocblas_complex_numIdElS3_PS3_S4_PKS4_EEv18rocblas_operation_S7_T0_S8_S8_T1_T2_lS8_S8_lT3_lS8_S8_lS9_T4_lS8_S8_l.uses_vcc, 0
	.set _ZN9rocsolver6v33100L16mfma_gemm_kernelI19rocblas_complex_numIdElS3_PS3_S4_PKS4_EEv18rocblas_operation_S7_T0_S8_S8_T1_T2_lS8_S8_lT3_lS8_S8_lS9_T4_lS8_S8_l.uses_flat_scratch, 0
	.set _ZN9rocsolver6v33100L16mfma_gemm_kernelI19rocblas_complex_numIdElS3_PS3_S4_PKS4_EEv18rocblas_operation_S7_T0_S8_S8_T1_T2_lS8_S8_lT3_lS8_S8_lS9_T4_lS8_S8_l.has_dyn_sized_stack, 0
	.set _ZN9rocsolver6v33100L16mfma_gemm_kernelI19rocblas_complex_numIdElS3_PS3_S4_PKS4_EEv18rocblas_operation_S7_T0_S8_S8_T1_T2_lS8_S8_lT3_lS8_S8_lS9_T4_lS8_S8_l.has_recursion, 0
	.set _ZN9rocsolver6v33100L16mfma_gemm_kernelI19rocblas_complex_numIdElS3_PS3_S4_PKS4_EEv18rocblas_operation_S7_T0_S8_S8_T1_T2_lS8_S8_lT3_lS8_S8_lS9_T4_lS8_S8_l.has_indirect_call, 0
	.section	.AMDGPU.csdata,"",@progbits
; Kernel info:
; codeLenInByte = 4
; TotalNumSgprs: 0
; NumVgprs: 0
; ScratchSize: 0
; MemoryBound: 0
; FloatMode: 240
; IeeeMode: 1
; LDSByteSize: 0 bytes/workgroup (compile time only)
; SGPRBlocks: 0
; VGPRBlocks: 0
; NumSGPRsForWavesPerEU: 1
; NumVGPRsForWavesPerEU: 1
; NamedBarCnt: 0
; Occupancy: 16
; WaveLimiterHint : 0
; COMPUTE_PGM_RSRC2:SCRATCH_EN: 0
; COMPUTE_PGM_RSRC2:USER_SGPR: 2
; COMPUTE_PGM_RSRC2:TRAP_HANDLER: 0
; COMPUTE_PGM_RSRC2:TGID_X_EN: 1
; COMPUTE_PGM_RSRC2:TGID_Y_EN: 0
; COMPUTE_PGM_RSRC2:TGID_Z_EN: 0
; COMPUTE_PGM_RSRC2:TIDIG_COMP_CNT: 0
	.section	.text._ZN9rocsolver6v33100L11gemm_kernelI19rocblas_complex_numIdElPKS3_PS3_S6_PKS6_EEvT0_S9_S9_T1_bT2_lS9_S9_lbT3_lS9_S9_lSA_T4_lS9_S9_l,"axG",@progbits,_ZN9rocsolver6v33100L11gemm_kernelI19rocblas_complex_numIdElPKS3_PS3_S6_PKS6_EEvT0_S9_S9_T1_bT2_lS9_S9_lbT3_lS9_S9_lSA_T4_lS9_S9_l,comdat
	.globl	_ZN9rocsolver6v33100L11gemm_kernelI19rocblas_complex_numIdElPKS3_PS3_S6_PKS6_EEvT0_S9_S9_T1_bT2_lS9_S9_lbT3_lS9_S9_lSA_T4_lS9_S9_l ; -- Begin function _ZN9rocsolver6v33100L11gemm_kernelI19rocblas_complex_numIdElPKS3_PS3_S6_PKS6_EEvT0_S9_S9_T1_bT2_lS9_S9_lbT3_lS9_S9_lSA_T4_lS9_S9_l
	.p2align	8
	.type	_ZN9rocsolver6v33100L11gemm_kernelI19rocblas_complex_numIdElPKS3_PS3_S6_PKS6_EEvT0_S9_S9_T1_bT2_lS9_S9_lbT3_lS9_S9_lSA_T4_lS9_S9_l,@function
_ZN9rocsolver6v33100L11gemm_kernelI19rocblas_complex_numIdElPKS3_PS3_S6_PKS6_EEvT0_S9_S9_T1_bT2_lS9_S9_lbT3_lS9_S9_lSA_T4_lS9_S9_l: ; @_ZN9rocsolver6v33100L11gemm_kernelI19rocblas_complex_numIdElPKS3_PS3_S6_PKS6_EEvT0_S9_S9_T1_bT2_lS9_S9_lbT3_lS9_S9_lSA_T4_lS9_S9_l
; %bb.0:
	s_load_b32 s2, s[0:1], 0xbc
	s_bfe_u32 s5, ttmp6, 0x40010
	s_bfe_u32 s8, ttmp6, 0x4000c
	s_and_b32 s4, ttmp7, 0xffff
	s_add_co_i32 s5, s5, 1
	s_add_co_i32 s8, s8, 1
	s_bfe_u32 s6, ttmp6, 0x40004
	s_and_b32 s7, ttmp6, 15
	s_mul_i32 s5, s4, s5
	s_mul_i32 s8, ttmp9, s8
	s_getreg_b32 s3, hwreg(HW_REG_IB_STS2, 6, 4)
	v_mov_b32_e32 v5, 0
	v_and_b32_e32 v4, 0x3ff, v0
	s_add_co_i32 s6, s6, s5
	s_add_co_i32 s7, s7, s8
	s_load_b256 s[16:23], s[0:1], 0x0
	s_mov_b32 s35, 0
	s_wait_kmcnt 0x0
	s_lshr_b32 s5, s2, 16
	s_and_b32 s2, s2, 0xffff
	s_cmp_eq_u32 s3, 0
	s_cselect_b32 s7, ttmp9, s7
	s_delay_alu instid0(SALU_CYCLE_1)
	v_mad_nc_u64_u32 v[2:3], s2, s7, v[4:5]
	v_bfe_u32 v4, v0, 10, 10
	s_cselect_b32 s2, s4, s6
	s_delay_alu instid0(VALU_DEP_1) | instid1(SALU_CYCLE_1)
	v_mad_nc_u64_u32 v[0:1], s5, s2, v[4:5]
	s_delay_alu instid0(VALU_DEP_3) | instskip(NEXT) | instid1(VALU_DEP_2)
	v_cmp_gt_i64_e32 vcc_lo, s[16:17], v[2:3]
	v_cmp_gt_i64_e64 s2, s[18:19], v[0:1]
	s_and_b32 s2, vcc_lo, s2
	s_delay_alu instid0(SALU_CYCLE_1)
	s_and_saveexec_b32 s4, s2
	s_cbranch_execz .LBB64_6
; %bb.1:
	s_load_b512 s[4:19], s[0:1], 0x58
	s_bfe_u32 s2, ttmp6, 0x40014
	s_lshr_b32 s24, ttmp7, 16
	s_add_co_i32 s2, s2, 1
	v_cmp_lt_i64_e64 s25, s[20:21], 1
	s_mul_i32 s2, s24, s2
	s_bfe_u32 s26, ttmp6, 0x40008
	s_delay_alu instid0(SALU_CYCLE_1)
	s_add_co_i32 s26, s26, s2
	s_cmp_eq_u32 s3, 0
	s_cselect_b32 s34, s24, s26
	s_and_b32 vcc_lo, exec_lo, s25
	s_cbranch_vccnz .LBB64_4
; %bb.2:
	s_clause 0x1
	s_load_b256 s[24:31], s[0:1], 0x28
	s_load_b32 s2, s[0:1], 0x20
	s_wait_kmcnt 0x0
	v_mul_u64_e32 v[4:5], s[10:11], v[0:1]
	s_load_b96 s[36:38], s[0:1], 0x48
	s_mul_u64 s[10:11], s[12:13], s[34:35]
	v_mul_u64_e32 v[6:7], s[28:29], v[2:3]
	s_bitcmp1_b32 s2, 0
	s_wait_kmcnt 0x0
	s_mul_u64 s[12:13], s[36:37], s[34:35]
	s_cselect_b32 vcc_lo, -1, 0
	s_bitcmp1_b32 s38, 0
	s_cselect_b32 s2, -1, 0
	s_lshl_b64 s[26:27], s[26:27], 4
	s_lshl_b64 s[6:7], s[6:7], 4
	;; [unrolled: 1-line block ×4, first 2 shown]
	s_add_nc_u64 s[4:5], s[4:5], s[6:7]
	s_add_nc_u64 s[6:7], s[24:25], s[26:27]
	;; [unrolled: 1-line block ×4, first 2 shown]
	s_delay_alu instid0(VALU_DEP_2) | instskip(SKIP_2) | instid1(VALU_DEP_2)
	v_lshl_add_u64 v[8:9], v[4:5], 4, s[4:5]
	v_mov_b64_e32 v[4:5], 0
	s_lshl_b64 s[4:5], s[30:31], 4
	v_add_nc_u64_e32 v[8:9], 8, v[8:9]
	s_delay_alu instid0(VALU_DEP_4) | instskip(SKIP_1) | instid1(VALU_DEP_1)
	v_lshl_add_u64 v[6:7], v[6:7], 4, s[6:7]
	s_lshl_b64 s[6:7], s[8:9], 4
	v_add_nc_u64_e32 v[10:11], 8, v[6:7]
	v_mov_b64_e32 v[6:7], 0
.LBB64_3:                               ; =>This Inner Loop Header: Depth=1
	global_load_b128 v[12:15], v[10:11], off offset:-8
	global_load_b128 v[16:19], v[8:9], off offset:-8
	s_wait_xcnt 0x1
	v_add_nc_u64_e32 v[10:11], s[4:5], v[10:11]
	s_wait_xcnt 0x0
	v_add_nc_u64_e32 v[8:9], s[6:7], v[8:9]
	s_add_nc_u64 s[20:21], s[20:21], -1
	s_delay_alu instid0(SALU_CYCLE_1) | instskip(SKIP_4) | instid1(VALU_DEP_2)
	s_cmp_eq_u64 s[20:21], 0
	s_wait_loadcnt 0x1
	v_xor_b32_e32 v20, 0x80000000, v15
	s_wait_loadcnt 0x0
	v_xor_b32_e32 v21, 0x80000000, v19
	v_cndmask_b32_e32 v15, v15, v20, vcc_lo
	s_delay_alu instid0(VALU_DEP_2) | instskip(NEXT) | instid1(VALU_DEP_1)
	v_cndmask_b32_e64 v19, v19, v21, s2
	v_mul_f64_e32 v[20:21], v[14:15], v[18:19]
	v_mul_f64_e32 v[14:15], v[14:15], v[16:17]
	s_delay_alu instid0(VALU_DEP_2) | instskip(NEXT) | instid1(VALU_DEP_2)
	v_fma_f64 v[16:17], v[12:13], v[16:17], -v[20:21]
	v_fmac_f64_e32 v[14:15], v[12:13], v[18:19]
	s_delay_alu instid0(VALU_DEP_2) | instskip(NEXT) | instid1(VALU_DEP_2)
	v_add_f64_e32 v[6:7], v[6:7], v[16:17]
	v_add_f64_e32 v[4:5], v[4:5], v[14:15]
	s_cbranch_scc0 .LBB64_3
	s_branch .LBB64_5
.LBB64_4:
	v_mov_b64_e32 v[4:5], 0
	v_mov_b64_e32 v[6:7], 0
.LBB64_5:
	s_wait_kmcnt 0x0
	s_load_b128 s[8:11], s[22:23], 0x0
	s_load_b128 s[4:7], s[14:15], 0x0
	s_load_b64 s[2:3], s[16:17], s34 offset:0x0 scale_offset
                                        ; kill: killed $sgpr34
                                        ; kill: killed $sgpr22_sgpr23
                                        ; kill: killed $sgpr14_sgpr15 killed $sgpr16_sgpr17
	s_wait_xcnt 0x0
	s_load_b128 s[12:15], s[0:1], 0x98
	s_wait_xcnt 0x0
	s_lshl_b64 s[0:1], s[18:19], 4
	s_wait_kmcnt 0x0
	s_delay_alu instid0(VALU_DEP_1) | instskip(SKIP_4) | instid1(VALU_DEP_4)
	v_mul_f64_e32 v[10:11], s[10:11], v[4:5]
	v_mul_f64_e32 v[4:5], s[8:9], v[4:5]
	s_add_nc_u64 s[0:1], s[2:3], s[0:1]
	v_mul_u64_e32 v[2:3], s[12:13], v[2:3]
	v_mul_u64_e32 v[0:1], s[14:15], v[0:1]
	v_fma_f64 v[10:11], s[8:9], v[6:7], -v[10:11]
	s_delay_alu instid0(VALU_DEP_4) | instskip(NEXT) | instid1(VALU_DEP_4)
	v_fmac_f64_e32 v[4:5], s[10:11], v[6:7]
	v_lshl_add_u64 v[2:3], v[2:3], 4, s[0:1]
	s_delay_alu instid0(VALU_DEP_1) | instskip(SKIP_4) | instid1(VALU_DEP_2)
	v_lshl_add_u64 v[8:9], v[0:1], 4, v[2:3]
	flat_load_b128 v[0:3], v[8:9]
	s_wait_loadcnt_dscnt 0x0
	v_mul_f64_e32 v[12:13], s[6:7], v[2:3]
	v_mul_f64_e32 v[2:3], s[4:5], v[2:3]
	v_fma_f64 v[6:7], s[4:5], v[0:1], -v[12:13]
	s_delay_alu instid0(VALU_DEP_2) | instskip(NEXT) | instid1(VALU_DEP_2)
	v_fmac_f64_e32 v[2:3], s[6:7], v[0:1]
	v_add_f64_e32 v[0:1], v[10:11], v[6:7]
	s_delay_alu instid0(VALU_DEP_2)
	v_add_f64_e32 v[2:3], v[4:5], v[2:3]
	flat_store_b128 v[8:9], v[0:3]
.LBB64_6:
	s_endpgm
	.section	.rodata,"a",@progbits
	.p2align	6, 0x0
	.amdhsa_kernel _ZN9rocsolver6v33100L11gemm_kernelI19rocblas_complex_numIdElPKS3_PS3_S6_PKS6_EEvT0_S9_S9_T1_bT2_lS9_S9_lbT3_lS9_S9_lSA_T4_lS9_S9_l
		.amdhsa_group_segment_fixed_size 0
		.amdhsa_private_segment_fixed_size 0
		.amdhsa_kernarg_size 432
		.amdhsa_user_sgpr_count 2
		.amdhsa_user_sgpr_dispatch_ptr 0
		.amdhsa_user_sgpr_queue_ptr 0
		.amdhsa_user_sgpr_kernarg_segment_ptr 1
		.amdhsa_user_sgpr_dispatch_id 0
		.amdhsa_user_sgpr_kernarg_preload_length 0
		.amdhsa_user_sgpr_kernarg_preload_offset 0
		.amdhsa_user_sgpr_private_segment_size 0
		.amdhsa_wavefront_size32 1
		.amdhsa_uses_dynamic_stack 0
		.amdhsa_enable_private_segment 0
		.amdhsa_system_sgpr_workgroup_id_x 1
		.amdhsa_system_sgpr_workgroup_id_y 1
		.amdhsa_system_sgpr_workgroup_id_z 1
		.amdhsa_system_sgpr_workgroup_info 0
		.amdhsa_system_vgpr_workitem_id 1
		.amdhsa_next_free_vgpr 22
		.amdhsa_next_free_sgpr 39
		.amdhsa_named_barrier_count 0
		.amdhsa_reserve_vcc 1
		.amdhsa_float_round_mode_32 0
		.amdhsa_float_round_mode_16_64 0
		.amdhsa_float_denorm_mode_32 3
		.amdhsa_float_denorm_mode_16_64 3
		.amdhsa_fp16_overflow 0
		.amdhsa_memory_ordered 1
		.amdhsa_forward_progress 1
		.amdhsa_inst_pref_size 6
		.amdhsa_round_robin_scheduling 0
		.amdhsa_exception_fp_ieee_invalid_op 0
		.amdhsa_exception_fp_denorm_src 0
		.amdhsa_exception_fp_ieee_div_zero 0
		.amdhsa_exception_fp_ieee_overflow 0
		.amdhsa_exception_fp_ieee_underflow 0
		.amdhsa_exception_fp_ieee_inexact 0
		.amdhsa_exception_int_div_zero 0
	.end_amdhsa_kernel
	.section	.text._ZN9rocsolver6v33100L11gemm_kernelI19rocblas_complex_numIdElPKS3_PS3_S6_PKS6_EEvT0_S9_S9_T1_bT2_lS9_S9_lbT3_lS9_S9_lSA_T4_lS9_S9_l,"axG",@progbits,_ZN9rocsolver6v33100L11gemm_kernelI19rocblas_complex_numIdElPKS3_PS3_S6_PKS6_EEvT0_S9_S9_T1_bT2_lS9_S9_lbT3_lS9_S9_lSA_T4_lS9_S9_l,comdat
.Lfunc_end64:
	.size	_ZN9rocsolver6v33100L11gemm_kernelI19rocblas_complex_numIdElPKS3_PS3_S6_PKS6_EEvT0_S9_S9_T1_bT2_lS9_S9_lbT3_lS9_S9_lSA_T4_lS9_S9_l, .Lfunc_end64-_ZN9rocsolver6v33100L11gemm_kernelI19rocblas_complex_numIdElPKS3_PS3_S6_PKS6_EEvT0_S9_S9_T1_bT2_lS9_S9_lbT3_lS9_S9_lSA_T4_lS9_S9_l
                                        ; -- End function
	.set _ZN9rocsolver6v33100L11gemm_kernelI19rocblas_complex_numIdElPKS3_PS3_S6_PKS6_EEvT0_S9_S9_T1_bT2_lS9_S9_lbT3_lS9_S9_lSA_T4_lS9_S9_l.num_vgpr, 22
	.set _ZN9rocsolver6v33100L11gemm_kernelI19rocblas_complex_numIdElPKS3_PS3_S6_PKS6_EEvT0_S9_S9_T1_bT2_lS9_S9_lbT3_lS9_S9_lSA_T4_lS9_S9_l.num_agpr, 0
	.set _ZN9rocsolver6v33100L11gemm_kernelI19rocblas_complex_numIdElPKS3_PS3_S6_PKS6_EEvT0_S9_S9_T1_bT2_lS9_S9_lbT3_lS9_S9_lSA_T4_lS9_S9_l.numbered_sgpr, 39
	.set _ZN9rocsolver6v33100L11gemm_kernelI19rocblas_complex_numIdElPKS3_PS3_S6_PKS6_EEvT0_S9_S9_T1_bT2_lS9_S9_lbT3_lS9_S9_lSA_T4_lS9_S9_l.num_named_barrier, 0
	.set _ZN9rocsolver6v33100L11gemm_kernelI19rocblas_complex_numIdElPKS3_PS3_S6_PKS6_EEvT0_S9_S9_T1_bT2_lS9_S9_lbT3_lS9_S9_lSA_T4_lS9_S9_l.private_seg_size, 0
	.set _ZN9rocsolver6v33100L11gemm_kernelI19rocblas_complex_numIdElPKS3_PS3_S6_PKS6_EEvT0_S9_S9_T1_bT2_lS9_S9_lbT3_lS9_S9_lSA_T4_lS9_S9_l.uses_vcc, 1
	.set _ZN9rocsolver6v33100L11gemm_kernelI19rocblas_complex_numIdElPKS3_PS3_S6_PKS6_EEvT0_S9_S9_T1_bT2_lS9_S9_lbT3_lS9_S9_lSA_T4_lS9_S9_l.uses_flat_scratch, 0
	.set _ZN9rocsolver6v33100L11gemm_kernelI19rocblas_complex_numIdElPKS3_PS3_S6_PKS6_EEvT0_S9_S9_T1_bT2_lS9_S9_lbT3_lS9_S9_lSA_T4_lS9_S9_l.has_dyn_sized_stack, 0
	.set _ZN9rocsolver6v33100L11gemm_kernelI19rocblas_complex_numIdElPKS3_PS3_S6_PKS6_EEvT0_S9_S9_T1_bT2_lS9_S9_lbT3_lS9_S9_lSA_T4_lS9_S9_l.has_recursion, 0
	.set _ZN9rocsolver6v33100L11gemm_kernelI19rocblas_complex_numIdElPKS3_PS3_S6_PKS6_EEvT0_S9_S9_T1_bT2_lS9_S9_lbT3_lS9_S9_lSA_T4_lS9_S9_l.has_indirect_call, 0
	.section	.AMDGPU.csdata,"",@progbits
; Kernel info:
; codeLenInByte = 728
; TotalNumSgprs: 41
; NumVgprs: 22
; ScratchSize: 0
; MemoryBound: 0
; FloatMode: 240
; IeeeMode: 1
; LDSByteSize: 0 bytes/workgroup (compile time only)
; SGPRBlocks: 0
; VGPRBlocks: 1
; NumSGPRsForWavesPerEU: 41
; NumVGPRsForWavesPerEU: 22
; NamedBarCnt: 0
; Occupancy: 16
; WaveLimiterHint : 1
; COMPUTE_PGM_RSRC2:SCRATCH_EN: 0
; COMPUTE_PGM_RSRC2:USER_SGPR: 2
; COMPUTE_PGM_RSRC2:TRAP_HANDLER: 0
; COMPUTE_PGM_RSRC2:TGID_X_EN: 1
; COMPUTE_PGM_RSRC2:TGID_Y_EN: 1
; COMPUTE_PGM_RSRC2:TGID_Z_EN: 1
; COMPUTE_PGM_RSRC2:TIDIG_COMP_CNT: 1
	.section	.text._ZN9rocsolver6v33100L11gemm_kernelI19rocblas_complex_numIdElS3_PS3_S4_PKS4_EEvT0_S7_S7_T1_bT2_lS7_S7_lbT3_lS7_S7_lS8_T4_lS7_S7_l,"axG",@progbits,_ZN9rocsolver6v33100L11gemm_kernelI19rocblas_complex_numIdElS3_PS3_S4_PKS4_EEvT0_S7_S7_T1_bT2_lS7_S7_lbT3_lS7_S7_lS8_T4_lS7_S7_l,comdat
	.globl	_ZN9rocsolver6v33100L11gemm_kernelI19rocblas_complex_numIdElS3_PS3_S4_PKS4_EEvT0_S7_S7_T1_bT2_lS7_S7_lbT3_lS7_S7_lS8_T4_lS7_S7_l ; -- Begin function _ZN9rocsolver6v33100L11gemm_kernelI19rocblas_complex_numIdElS3_PS3_S4_PKS4_EEvT0_S7_S7_T1_bT2_lS7_S7_lbT3_lS7_S7_lS8_T4_lS7_S7_l
	.p2align	8
	.type	_ZN9rocsolver6v33100L11gemm_kernelI19rocblas_complex_numIdElS3_PS3_S4_PKS4_EEvT0_S7_S7_T1_bT2_lS7_S7_lbT3_lS7_S7_lS8_T4_lS7_S7_l,@function
_ZN9rocsolver6v33100L11gemm_kernelI19rocblas_complex_numIdElS3_PS3_S4_PKS4_EEvT0_S7_S7_T1_bT2_lS7_S7_lbT3_lS7_S7_lS8_T4_lS7_S7_l: ; @_ZN9rocsolver6v33100L11gemm_kernelI19rocblas_complex_numIdElS3_PS3_S4_PKS4_EEvT0_S7_S7_T1_bT2_lS7_S7_lbT3_lS7_S7_lS8_T4_lS7_S7_l
; %bb.0:
	s_load_b32 s2, s[0:1], 0xcc
	s_bfe_u32 s5, ttmp6, 0x40010
	s_bfe_u32 s8, ttmp6, 0x4000c
	s_and_b32 s4, ttmp7, 0xffff
	s_add_co_i32 s5, s5, 1
	s_add_co_i32 s8, s8, 1
	s_bfe_u32 s6, ttmp6, 0x40004
	s_and_b32 s7, ttmp6, 15
	s_mul_i32 s5, s4, s5
	s_mul_i32 s8, ttmp9, s8
	s_getreg_b32 s3, hwreg(HW_REG_IB_STS2, 6, 4)
	v_mov_b32_e32 v5, 0
	v_and_b32_e32 v4, 0x3ff, v0
	s_add_co_i32 s6, s6, s5
	s_add_co_i32 s7, s7, s8
	s_load_b256 s[16:23], s[0:1], 0x0
	s_mov_b32 s37, 0
	s_wait_kmcnt 0x0
	s_lshr_b32 s5, s2, 16
	s_and_b32 s2, s2, 0xffff
	s_cmp_eq_u32 s3, 0
	s_cselect_b32 s7, ttmp9, s7
	s_delay_alu instid0(SALU_CYCLE_1)
	v_mad_nc_u64_u32 v[2:3], s2, s7, v[4:5]
	v_bfe_u32 v4, v0, 10, 10
	s_cselect_b32 s2, s4, s6
	s_delay_alu instid0(VALU_DEP_1) | instid1(SALU_CYCLE_1)
	v_mad_nc_u64_u32 v[0:1], s5, s2, v[4:5]
	s_delay_alu instid0(VALU_DEP_3) | instskip(NEXT) | instid1(VALU_DEP_2)
	v_cmp_gt_i64_e32 vcc_lo, s[16:17], v[2:3]
	v_cmp_gt_i64_e64 s2, s[18:19], v[0:1]
	s_and_b32 s2, vcc_lo, s2
	s_delay_alu instid0(SALU_CYCLE_1)
	s_and_saveexec_b32 s4, s2
	s_cbranch_execz .LBB65_6
; %bb.1:
	s_clause 0x1
	s_load_b64 s[34:35], s[0:1], 0x20
	s_load_b512 s[4:19], s[0:1], 0x60
	s_bfe_u32 s2, ttmp6, 0x40014
	s_lshr_b32 s24, ttmp7, 16
	s_add_co_i32 s2, s2, 1
	v_cmp_lt_i64_e64 s25, s[20:21], 1
	s_mul_i32 s2, s24, s2
	s_bfe_u32 s26, ttmp6, 0x40008
	s_delay_alu instid0(SALU_CYCLE_1)
	s_add_co_i32 s26, s26, s2
	s_cmp_eq_u32 s3, 0
	s_cselect_b32 s36, s24, s26
	s_and_b32 vcc_lo, exec_lo, s25
	s_cbranch_vccnz .LBB65_4
; %bb.2:
	s_clause 0x1
	s_load_b256 s[24:31], s[0:1], 0x30
	s_load_b32 s2, s[0:1], 0x28
	s_wait_kmcnt 0x0
	v_mul_u64_e32 v[4:5], s[10:11], v[0:1]
	s_load_b96 s[40:42], s[0:1], 0x50
	s_mul_u64 s[10:11], s[12:13], s[36:37]
	v_mul_u64_e32 v[6:7], s[28:29], v[2:3]
	s_bitcmp1_b32 s2, 0
	s_wait_kmcnt 0x0
	s_mul_u64 s[12:13], s[40:41], s[36:37]
	s_cselect_b32 vcc_lo, -1, 0
	s_bitcmp1_b32 s42, 0
	s_cselect_b32 s2, -1, 0
	s_lshl_b64 s[26:27], s[26:27], 4
	s_lshl_b64 s[6:7], s[6:7], 4
	;; [unrolled: 1-line block ×4, first 2 shown]
	s_add_nc_u64 s[4:5], s[4:5], s[6:7]
	s_add_nc_u64 s[6:7], s[24:25], s[26:27]
	;; [unrolled: 1-line block ×4, first 2 shown]
	s_delay_alu instid0(VALU_DEP_2) | instskip(SKIP_2) | instid1(VALU_DEP_2)
	v_lshl_add_u64 v[8:9], v[4:5], 4, s[4:5]
	v_mov_b64_e32 v[4:5], 0
	s_lshl_b64 s[4:5], s[30:31], 4
	v_add_nc_u64_e32 v[8:9], 8, v[8:9]
	s_delay_alu instid0(VALU_DEP_4) | instskip(SKIP_1) | instid1(VALU_DEP_1)
	v_lshl_add_u64 v[6:7], v[6:7], 4, s[6:7]
	s_lshl_b64 s[6:7], s[8:9], 4
	v_add_nc_u64_e32 v[10:11], 8, v[6:7]
	v_mov_b64_e32 v[6:7], 0
.LBB65_3:                               ; =>This Inner Loop Header: Depth=1
	global_load_b128 v[12:15], v[10:11], off offset:-8
	global_load_b128 v[16:19], v[8:9], off offset:-8
	s_wait_xcnt 0x1
	v_add_nc_u64_e32 v[10:11], s[4:5], v[10:11]
	s_wait_xcnt 0x0
	v_add_nc_u64_e32 v[8:9], s[6:7], v[8:9]
	s_add_nc_u64 s[20:21], s[20:21], -1
	s_delay_alu instid0(SALU_CYCLE_1) | instskip(SKIP_4) | instid1(VALU_DEP_2)
	s_cmp_eq_u64 s[20:21], 0
	s_wait_loadcnt 0x1
	v_xor_b32_e32 v20, 0x80000000, v15
	s_wait_loadcnt 0x0
	v_xor_b32_e32 v21, 0x80000000, v19
	v_cndmask_b32_e32 v15, v15, v20, vcc_lo
	s_delay_alu instid0(VALU_DEP_2) | instskip(NEXT) | instid1(VALU_DEP_1)
	v_cndmask_b32_e64 v19, v19, v21, s2
	v_mul_f64_e32 v[20:21], v[14:15], v[18:19]
	v_mul_f64_e32 v[14:15], v[14:15], v[16:17]
	s_delay_alu instid0(VALU_DEP_2) | instskip(NEXT) | instid1(VALU_DEP_2)
	v_fma_f64 v[16:17], v[12:13], v[16:17], -v[20:21]
	v_fmac_f64_e32 v[14:15], v[12:13], v[18:19]
	s_delay_alu instid0(VALU_DEP_2) | instskip(NEXT) | instid1(VALU_DEP_2)
	v_add_f64_e32 v[6:7], v[6:7], v[16:17]
	v_add_f64_e32 v[4:5], v[4:5], v[14:15]
	s_cbranch_scc0 .LBB65_3
	s_branch .LBB65_5
.LBB65_4:
	v_mov_b64_e32 v[4:5], 0
	v_mov_b64_e32 v[6:7], 0
.LBB65_5:
	s_wait_kmcnt 0x0
	s_load_b64 s[2:3], s[18:19], s36 offset:0x0 scale_offset
	s_clause 0x1
	s_load_b128 s[4:7], s[0:1], 0xa0
	s_load_b64 s[8:9], s[0:1], 0xb0
	s_delay_alu instid0(VALU_DEP_1)
	v_mul_f64_e32 v[10:11], s[34:35], v[4:5]
	v_mul_f64_e32 v[4:5], s[22:23], v[4:5]
	s_wait_kmcnt 0x0
	v_mul_u64_e32 v[2:3], s[6:7], v[2:3]
	v_mul_u64_e32 v[0:1], s[8:9], v[0:1]
	s_lshl_b64 s[0:1], s[4:5], 4
	s_delay_alu instid0(SALU_CYCLE_1) | instskip(NEXT) | instid1(VALU_DEP_4)
	s_add_nc_u64 s[0:1], s[2:3], s[0:1]
	v_fma_f64 v[10:11], s[22:23], v[6:7], -v[10:11]
	s_delay_alu instid0(VALU_DEP_4) | instskip(NEXT) | instid1(VALU_DEP_4)
	v_fmac_f64_e32 v[4:5], s[34:35], v[6:7]
	v_lshl_add_u64 v[2:3], v[2:3], 4, s[0:1]
	s_delay_alu instid0(VALU_DEP_1) | instskip(SKIP_4) | instid1(VALU_DEP_2)
	v_lshl_add_u64 v[8:9], v[0:1], 4, v[2:3]
	flat_load_b128 v[0:3], v[8:9]
	s_wait_loadcnt_dscnt 0x0
	v_mul_f64_e32 v[12:13], s[16:17], v[2:3]
	v_mul_f64_e32 v[2:3], s[14:15], v[2:3]
	v_fma_f64 v[6:7], s[14:15], v[0:1], -v[12:13]
	s_delay_alu instid0(VALU_DEP_2) | instskip(NEXT) | instid1(VALU_DEP_2)
	v_fmac_f64_e32 v[2:3], s[16:17], v[0:1]
	v_add_f64_e32 v[0:1], v[10:11], v[6:7]
	s_delay_alu instid0(VALU_DEP_2)
	v_add_f64_e32 v[2:3], v[4:5], v[2:3]
	flat_store_b128 v[8:9], v[0:3]
.LBB65_6:
	s_endpgm
	.section	.rodata,"a",@progbits
	.p2align	6, 0x0
	.amdhsa_kernel _ZN9rocsolver6v33100L11gemm_kernelI19rocblas_complex_numIdElS3_PS3_S4_PKS4_EEvT0_S7_S7_T1_bT2_lS7_S7_lbT3_lS7_S7_lS8_T4_lS7_S7_l
		.amdhsa_group_segment_fixed_size 0
		.amdhsa_private_segment_fixed_size 0
		.amdhsa_kernarg_size 448
		.amdhsa_user_sgpr_count 2
		.amdhsa_user_sgpr_dispatch_ptr 0
		.amdhsa_user_sgpr_queue_ptr 0
		.amdhsa_user_sgpr_kernarg_segment_ptr 1
		.amdhsa_user_sgpr_dispatch_id 0
		.amdhsa_user_sgpr_kernarg_preload_length 0
		.amdhsa_user_sgpr_kernarg_preload_offset 0
		.amdhsa_user_sgpr_private_segment_size 0
		.amdhsa_wavefront_size32 1
		.amdhsa_uses_dynamic_stack 0
		.amdhsa_enable_private_segment 0
		.amdhsa_system_sgpr_workgroup_id_x 1
		.amdhsa_system_sgpr_workgroup_id_y 1
		.amdhsa_system_sgpr_workgroup_id_z 1
		.amdhsa_system_sgpr_workgroup_info 0
		.amdhsa_system_vgpr_workitem_id 1
		.amdhsa_next_free_vgpr 22
		.amdhsa_next_free_sgpr 43
		.amdhsa_named_barrier_count 0
		.amdhsa_reserve_vcc 1
		.amdhsa_float_round_mode_32 0
		.amdhsa_float_round_mode_16_64 0
		.amdhsa_float_denorm_mode_32 3
		.amdhsa_float_denorm_mode_16_64 3
		.amdhsa_fp16_overflow 0
		.amdhsa_memory_ordered 1
		.amdhsa_forward_progress 1
		.amdhsa_inst_pref_size 6
		.amdhsa_round_robin_scheduling 0
		.amdhsa_exception_fp_ieee_invalid_op 0
		.amdhsa_exception_fp_denorm_src 0
		.amdhsa_exception_fp_ieee_div_zero 0
		.amdhsa_exception_fp_ieee_overflow 0
		.amdhsa_exception_fp_ieee_underflow 0
		.amdhsa_exception_fp_ieee_inexact 0
		.amdhsa_exception_int_div_zero 0
	.end_amdhsa_kernel
	.section	.text._ZN9rocsolver6v33100L11gemm_kernelI19rocblas_complex_numIdElS3_PS3_S4_PKS4_EEvT0_S7_S7_T1_bT2_lS7_S7_lbT3_lS7_S7_lS8_T4_lS7_S7_l,"axG",@progbits,_ZN9rocsolver6v33100L11gemm_kernelI19rocblas_complex_numIdElS3_PS3_S4_PKS4_EEvT0_S7_S7_T1_bT2_lS7_S7_lbT3_lS7_S7_lS8_T4_lS7_S7_l,comdat
.Lfunc_end65:
	.size	_ZN9rocsolver6v33100L11gemm_kernelI19rocblas_complex_numIdElS3_PS3_S4_PKS4_EEvT0_S7_S7_T1_bT2_lS7_S7_lbT3_lS7_S7_lS8_T4_lS7_S7_l, .Lfunc_end65-_ZN9rocsolver6v33100L11gemm_kernelI19rocblas_complex_numIdElS3_PS3_S4_PKS4_EEvT0_S7_S7_T1_bT2_lS7_S7_lbT3_lS7_S7_lS8_T4_lS7_S7_l
                                        ; -- End function
	.set _ZN9rocsolver6v33100L11gemm_kernelI19rocblas_complex_numIdElS3_PS3_S4_PKS4_EEvT0_S7_S7_T1_bT2_lS7_S7_lbT3_lS7_S7_lS8_T4_lS7_S7_l.num_vgpr, 22
	.set _ZN9rocsolver6v33100L11gemm_kernelI19rocblas_complex_numIdElS3_PS3_S4_PKS4_EEvT0_S7_S7_T1_bT2_lS7_S7_lbT3_lS7_S7_lS8_T4_lS7_S7_l.num_agpr, 0
	.set _ZN9rocsolver6v33100L11gemm_kernelI19rocblas_complex_numIdElS3_PS3_S4_PKS4_EEvT0_S7_S7_T1_bT2_lS7_S7_lbT3_lS7_S7_lS8_T4_lS7_S7_l.numbered_sgpr, 43
	.set _ZN9rocsolver6v33100L11gemm_kernelI19rocblas_complex_numIdElS3_PS3_S4_PKS4_EEvT0_S7_S7_T1_bT2_lS7_S7_lbT3_lS7_S7_lS8_T4_lS7_S7_l.num_named_barrier, 0
	.set _ZN9rocsolver6v33100L11gemm_kernelI19rocblas_complex_numIdElS3_PS3_S4_PKS4_EEvT0_S7_S7_T1_bT2_lS7_S7_lbT3_lS7_S7_lS8_T4_lS7_S7_l.private_seg_size, 0
	.set _ZN9rocsolver6v33100L11gemm_kernelI19rocblas_complex_numIdElS3_PS3_S4_PKS4_EEvT0_S7_S7_T1_bT2_lS7_S7_lbT3_lS7_S7_lS8_T4_lS7_S7_l.uses_vcc, 1
	.set _ZN9rocsolver6v33100L11gemm_kernelI19rocblas_complex_numIdElS3_PS3_S4_PKS4_EEvT0_S7_S7_T1_bT2_lS7_S7_lbT3_lS7_S7_lS8_T4_lS7_S7_l.uses_flat_scratch, 0
	.set _ZN9rocsolver6v33100L11gemm_kernelI19rocblas_complex_numIdElS3_PS3_S4_PKS4_EEvT0_S7_S7_T1_bT2_lS7_S7_lbT3_lS7_S7_lS8_T4_lS7_S7_l.has_dyn_sized_stack, 0
	.set _ZN9rocsolver6v33100L11gemm_kernelI19rocblas_complex_numIdElS3_PS3_S4_PKS4_EEvT0_S7_S7_T1_bT2_lS7_S7_lbT3_lS7_S7_lS8_T4_lS7_S7_l.has_recursion, 0
	.set _ZN9rocsolver6v33100L11gemm_kernelI19rocblas_complex_numIdElS3_PS3_S4_PKS4_EEvT0_S7_S7_T1_bT2_lS7_S7_lbT3_lS7_S7_lS8_T4_lS7_S7_l.has_indirect_call, 0
	.section	.AMDGPU.csdata,"",@progbits
; Kernel info:
; codeLenInByte = 732
; TotalNumSgprs: 45
; NumVgprs: 22
; ScratchSize: 0
; MemoryBound: 0
; FloatMode: 240
; IeeeMode: 1
; LDSByteSize: 0 bytes/workgroup (compile time only)
; SGPRBlocks: 0
; VGPRBlocks: 1
; NumSGPRsForWavesPerEU: 45
; NumVGPRsForWavesPerEU: 22
; NamedBarCnt: 0
; Occupancy: 16
; WaveLimiterHint : 1
; COMPUTE_PGM_RSRC2:SCRATCH_EN: 0
; COMPUTE_PGM_RSRC2:USER_SGPR: 2
; COMPUTE_PGM_RSRC2:TRAP_HANDLER: 0
; COMPUTE_PGM_RSRC2:TGID_X_EN: 1
; COMPUTE_PGM_RSRC2:TGID_Y_EN: 1
; COMPUTE_PGM_RSRC2:TGID_Z_EN: 1
; COMPUTE_PGM_RSRC2:TIDIG_COMP_CNT: 1
	.section	.AMDGPU.gpr_maximums,"",@progbits
	.set amdgpu.max_num_vgpr, 0
	.set amdgpu.max_num_agpr, 0
	.set amdgpu.max_num_sgpr, 0
	.section	.AMDGPU.csdata,"",@progbits
	.type	__hip_cuid_547fcb8bf3ab7338,@object ; @__hip_cuid_547fcb8bf3ab7338
	.section	.bss,"aw",@nobits
	.globl	__hip_cuid_547fcb8bf3ab7338
__hip_cuid_547fcb8bf3ab7338:
	.byte	0                               ; 0x0
	.size	__hip_cuid_547fcb8bf3ab7338, 1

	.ident	"AMD clang version 22.0.0git (https://github.com/RadeonOpenCompute/llvm-project roc-7.2.4 26084 f58b06dce1f9c15707c5f808fd002e18c2accf7e)"
	.section	".note.GNU-stack","",@progbits
	.addrsig
	.addrsig_sym __hip_cuid_547fcb8bf3ab7338
	.amdgpu_metadata
---
amdhsa.kernels:
  - .args:
      - .offset:         0
        .size:           4
        .value_kind:     by_value
      - .offset:         4
        .size:           4
        .value_kind:     by_value
      - .offset:         8
        .size:           4
        .value_kind:     by_value
      - .offset:         12
        .size:           4
        .value_kind:     by_value
      - .offset:         16
        .size:           4
        .value_kind:     by_value
      - .address_space:  global
        .offset:         24
        .size:           8
        .value_kind:     global_buffer
      - .address_space:  global
        .offset:         32
        .size:           8
        .value_kind:     global_buffer
      - .offset:         40
        .size:           8
        .value_kind:     by_value
      - .offset:         48
        .size:           4
        .value_kind:     by_value
      - .offset:         52
        .size:           4
        .value_kind:     by_value
      - .offset:         56
        .size:           8
        .value_kind:     by_value
      - .address_space:  global
        .offset:         64
        .size:           8
        .value_kind:     global_buffer
      - .offset:         72
        .size:           8
        .value_kind:     by_value
      - .offset:         80
        .size:           4
        .value_kind:     by_value
      - .offset:         84
        .size:           4
        .value_kind:     by_value
      - .offset:         88
        .size:           8
        .value_kind:     by_value
      - .address_space:  global
        .offset:         96
        .size:           8
        .value_kind:     global_buffer
      - .address_space:  global
        .offset:         104
        .size:           8
        .value_kind:     global_buffer
      - .offset:         112
        .size:           8
        .value_kind:     by_value
      - .offset:         120
        .size:           4
        .value_kind:     by_value
      - .offset:         124
        .size:           4
        .value_kind:     by_value
      - .offset:         128
        .size:           8
        .value_kind:     by_value
    .group_segment_fixed_size: 0
    .kernarg_segment_align: 8
    .kernarg_segment_size: 136
    .language:       OpenCL C
    .language_version:
      - 2
      - 0
    .max_flat_workgroup_size: 1024
    .name:           _ZN9rocsolver6v33100L16mfma_gemm_kernelI19rocblas_complex_numIdEiPKS3_PS3_S6_S6_EEv18rocblas_operation_S7_T0_S8_S8_T1_T2_lS8_S8_lT3_lS8_S8_lS9_T4_lS8_S8_l
    .private_segment_fixed_size: 0
    .sgpr_count:     0
    .sgpr_spill_count: 0
    .symbol:         _ZN9rocsolver6v33100L16mfma_gemm_kernelI19rocblas_complex_numIdEiPKS3_PS3_S6_S6_EEv18rocblas_operation_S7_T0_S8_S8_T1_T2_lS8_S8_lT3_lS8_S8_lS9_T4_lS8_S8_l.kd
    .uniform_work_group_size: 1
    .uses_dynamic_stack: false
    .vgpr_count:     0
    .vgpr_spill_count: 0
    .wavefront_size: 32
  - .args:
      - .offset:         0
        .size:           4
        .value_kind:     by_value
      - .offset:         4
        .size:           4
        .value_kind:     by_value
      - .offset:         8
        .size:           4
        .value_kind:     by_value
      - .offset:         12
        .size:           4
        .value_kind:     by_value
      - .offset:         16
        .size:           4
        .value_kind:     by_value
      - .offset:         24
        .size:           16
        .value_kind:     by_value
      - .address_space:  global
        .offset:         40
        .size:           8
        .value_kind:     global_buffer
      - .offset:         48
        .size:           8
        .value_kind:     by_value
      - .offset:         56
        .size:           4
        .value_kind:     by_value
      - .offset:         60
        .size:           4
        .value_kind:     by_value
      - .offset:         64
        .size:           8
        .value_kind:     by_value
      - .address_space:  global
        .offset:         72
        .size:           8
        .value_kind:     global_buffer
      - .offset:         80
        .size:           8
        .value_kind:     by_value
      - .offset:         88
        .size:           4
        .value_kind:     by_value
      - .offset:         92
        .size:           4
        .value_kind:     by_value
      - .offset:         96
        .size:           8
        .value_kind:     by_value
      - .offset:         104
        .size:           16
        .value_kind:     by_value
      - .address_space:  global
        .offset:         120
        .size:           8
        .value_kind:     global_buffer
      - .offset:         128
        .size:           8
        .value_kind:     by_value
      - .offset:         136
        .size:           4
        .value_kind:     by_value
      - .offset:         140
        .size:           4
        .value_kind:     by_value
      - .offset:         144
        .size:           8
        .value_kind:     by_value
    .group_segment_fixed_size: 0
    .kernarg_segment_align: 8
    .kernarg_segment_size: 152
    .language:       OpenCL C
    .language_version:
      - 2
      - 0
    .max_flat_workgroup_size: 1024
    .name:           _ZN9rocsolver6v33100L16mfma_gemm_kernelI19rocblas_complex_numIdEiS3_PS3_S4_S4_EEv18rocblas_operation_S5_T0_S6_S6_T1_T2_lS6_S6_lT3_lS6_S6_lS7_T4_lS6_S6_l
    .private_segment_fixed_size: 0
    .sgpr_count:     0
    .sgpr_spill_count: 0
    .symbol:         _ZN9rocsolver6v33100L16mfma_gemm_kernelI19rocblas_complex_numIdEiS3_PS3_S4_S4_EEv18rocblas_operation_S5_T0_S6_S6_T1_T2_lS6_S6_lT3_lS6_S6_lS7_T4_lS6_S6_l.kd
    .uniform_work_group_size: 1
    .uses_dynamic_stack: false
    .vgpr_count:     0
    .vgpr_spill_count: 0
    .wavefront_size: 32
  - .args:
      - .offset:         0
        .size:           4
        .value_kind:     by_value
      - .offset:         4
        .size:           4
        .value_kind:     by_value
      - .offset:         8
        .size:           4
        .value_kind:     by_value
      - .address_space:  global
        .offset:         16
        .size:           8
        .value_kind:     global_buffer
      - .offset:         24
        .size:           1
        .value_kind:     by_value
      - .address_space:  global
        .offset:         32
        .size:           8
        .value_kind:     global_buffer
      - .offset:         40
        .size:           8
        .value_kind:     by_value
      - .offset:         48
        .size:           4
        .value_kind:     by_value
      - .offset:         52
        .size:           4
        .value_kind:     by_value
      - .offset:         56
        .size:           8
        .value_kind:     by_value
      - .offset:         64
        .size:           1
        .value_kind:     by_value
      - .address_space:  global
        .offset:         72
        .size:           8
        .value_kind:     global_buffer
      - .offset:         80
        .size:           8
        .value_kind:     by_value
      - .offset:         88
        .size:           4
        .value_kind:     by_value
      - .offset:         92
        .size:           4
        .value_kind:     by_value
      - .offset:         96
        .size:           8
        .value_kind:     by_value
      - .address_space:  global
        .offset:         104
        .size:           8
        .value_kind:     global_buffer
      - .address_space:  global
        .offset:         112
        .size:           8
        .value_kind:     global_buffer
      - .offset:         120
        .size:           8
        .value_kind:     by_value
      - .offset:         128
        .size:           4
        .value_kind:     by_value
      - .offset:         132
        .size:           4
        .value_kind:     by_value
      - .offset:         136
        .size:           8
        .value_kind:     by_value
      - .offset:         144
        .size:           4
        .value_kind:     hidden_block_count_x
      - .offset:         148
        .size:           4
        .value_kind:     hidden_block_count_y
      - .offset:         152
        .size:           4
        .value_kind:     hidden_block_count_z
      - .offset:         156
        .size:           2
        .value_kind:     hidden_group_size_x
      - .offset:         158
        .size:           2
        .value_kind:     hidden_group_size_y
      - .offset:         160
        .size:           2
        .value_kind:     hidden_group_size_z
      - .offset:         162
        .size:           2
        .value_kind:     hidden_remainder_x
      - .offset:         164
        .size:           2
        .value_kind:     hidden_remainder_y
      - .offset:         166
        .size:           2
        .value_kind:     hidden_remainder_z
      - .offset:         184
        .size:           8
        .value_kind:     hidden_global_offset_x
      - .offset:         192
        .size:           8
        .value_kind:     hidden_global_offset_y
      - .offset:         200
        .size:           8
        .value_kind:     hidden_global_offset_z
      - .offset:         208
        .size:           2
        .value_kind:     hidden_grid_dims
    .group_segment_fixed_size: 0
    .kernarg_segment_align: 8
    .kernarg_segment_size: 400
    .language:       OpenCL C
    .language_version:
      - 2
      - 0
    .max_flat_workgroup_size: 1024
    .name:           _ZN9rocsolver6v33100L11gemm_kernelI19rocblas_complex_numIdEiPKS3_PS3_S6_S6_EEvT0_S7_S7_T1_bT2_lS7_S7_lbT3_lS7_S7_lS8_T4_lS7_S7_l
    .private_segment_fixed_size: 0
    .sgpr_count:     34
    .sgpr_spill_count: 0
    .symbol:         _ZN9rocsolver6v33100L11gemm_kernelI19rocblas_complex_numIdEiPKS3_PS3_S6_S6_EEvT0_S7_S7_T1_bT2_lS7_S7_lbT3_lS7_S7_lS8_T4_lS7_S7_l.kd
    .uniform_work_group_size: 1
    .uses_dynamic_stack: false
    .vgpr_count:     20
    .vgpr_spill_count: 0
    .wavefront_size: 32
  - .args:
      - .offset:         0
        .size:           4
        .value_kind:     by_value
      - .offset:         4
        .size:           4
        .value_kind:     by_value
      - .offset:         8
        .size:           4
        .value_kind:     by_value
      - .offset:         16
        .size:           16
        .value_kind:     by_value
      - .offset:         32
        .size:           1
        .value_kind:     by_value
      - .address_space:  global
        .offset:         40
        .size:           8
        .value_kind:     global_buffer
      - .offset:         48
        .size:           8
        .value_kind:     by_value
      - .offset:         56
        .size:           4
        .value_kind:     by_value
      - .offset:         60
        .size:           4
        .value_kind:     by_value
      - .offset:         64
        .size:           8
        .value_kind:     by_value
      - .offset:         72
        .size:           1
        .value_kind:     by_value
      - .address_space:  global
        .offset:         80
        .size:           8
        .value_kind:     global_buffer
      - .offset:         88
        .size:           8
        .value_kind:     by_value
      - .offset:         96
        .size:           4
        .value_kind:     by_value
      - .offset:         100
        .size:           4
        .value_kind:     by_value
      - .offset:         104
        .size:           8
        .value_kind:     by_value
      - .offset:         112
        .size:           16
        .value_kind:     by_value
      - .address_space:  global
        .offset:         128
        .size:           8
        .value_kind:     global_buffer
      - .offset:         136
        .size:           8
        .value_kind:     by_value
      - .offset:         144
        .size:           4
        .value_kind:     by_value
      - .offset:         148
        .size:           4
        .value_kind:     by_value
      - .offset:         152
        .size:           8
        .value_kind:     by_value
      - .offset:         160
        .size:           4
        .value_kind:     hidden_block_count_x
      - .offset:         164
        .size:           4
        .value_kind:     hidden_block_count_y
      - .offset:         168
        .size:           4
        .value_kind:     hidden_block_count_z
      - .offset:         172
        .size:           2
        .value_kind:     hidden_group_size_x
      - .offset:         174
        .size:           2
        .value_kind:     hidden_group_size_y
      - .offset:         176
        .size:           2
        .value_kind:     hidden_group_size_z
      - .offset:         178
        .size:           2
        .value_kind:     hidden_remainder_x
      - .offset:         180
        .size:           2
        .value_kind:     hidden_remainder_y
      - .offset:         182
        .size:           2
        .value_kind:     hidden_remainder_z
      - .offset:         200
        .size:           8
        .value_kind:     hidden_global_offset_x
      - .offset:         208
        .size:           8
        .value_kind:     hidden_global_offset_y
      - .offset:         216
        .size:           8
        .value_kind:     hidden_global_offset_z
      - .offset:         224
        .size:           2
        .value_kind:     hidden_grid_dims
    .group_segment_fixed_size: 0
    .kernarg_segment_align: 8
    .kernarg_segment_size: 416
    .language:       OpenCL C
    .language_version:
      - 2
      - 0
    .max_flat_workgroup_size: 1024
    .name:           _ZN9rocsolver6v33100L11gemm_kernelI19rocblas_complex_numIdEiS3_PS3_S4_S4_EEvT0_S5_S5_T1_bT2_lS5_S5_lbT3_lS5_S5_lS6_T4_lS5_S5_l
    .private_segment_fixed_size: 0
    .sgpr_count:     34
    .sgpr_spill_count: 0
    .symbol:         _ZN9rocsolver6v33100L11gemm_kernelI19rocblas_complex_numIdEiS3_PS3_S4_S4_EEvT0_S5_S5_T1_bT2_lS5_S5_lbT3_lS5_S5_lS6_T4_lS5_S5_l.kd
    .uniform_work_group_size: 1
    .uses_dynamic_stack: false
    .vgpr_count:     20
    .vgpr_spill_count: 0
    .wavefront_size: 32
  - .args:
      - .offset:         0
        .size:           4
        .value_kind:     by_value
      - .offset:         4
        .size:           4
        .value_kind:     by_value
      - .offset:         8
        .size:           4
        .value_kind:     by_value
      - .offset:         12
        .size:           4
        .value_kind:     by_value
      - .offset:         16
        .size:           4
        .value_kind:     by_value
      - .address_space:  global
        .offset:         24
        .size:           8
        .value_kind:     global_buffer
      - .address_space:  global
        .offset:         32
        .size:           8
        .value_kind:     global_buffer
      - .offset:         40
        .size:           8
        .value_kind:     by_value
      - .offset:         48
        .size:           4
        .value_kind:     by_value
      - .offset:         52
        .size:           4
        .value_kind:     by_value
      - .offset:         56
        .size:           8
        .value_kind:     by_value
      - .address_space:  global
        .offset:         64
        .size:           8
        .value_kind:     global_buffer
      - .offset:         72
        .size:           8
        .value_kind:     by_value
      - .offset:         80
        .size:           4
        .value_kind:     by_value
      - .offset:         84
        .size:           4
        .value_kind:     by_value
      - .offset:         88
        .size:           8
        .value_kind:     by_value
      - .address_space:  global
        .offset:         96
        .size:           8
        .value_kind:     global_buffer
      - .address_space:  global
        .offset:         104
        .size:           8
        .value_kind:     global_buffer
      - .offset:         112
        .size:           8
        .value_kind:     by_value
      - .offset:         120
        .size:           4
        .value_kind:     by_value
      - .offset:         124
        .size:           4
        .value_kind:     by_value
      - .offset:         128
        .size:           8
        .value_kind:     by_value
    .group_segment_fixed_size: 0
    .kernarg_segment_align: 8
    .kernarg_segment_size: 136
    .language:       OpenCL C
    .language_version:
      - 2
      - 0
    .max_flat_workgroup_size: 1024
    .name:           _ZN9rocsolver6v33100L16mfma_gemm_kernelI19rocblas_complex_numIdEiPKS3_PKPS3_S8_S8_EEv18rocblas_operation_S9_T0_SA_SA_T1_T2_lSA_SA_lT3_lSA_SA_lSB_T4_lSA_SA_l
    .private_segment_fixed_size: 0
    .sgpr_count:     0
    .sgpr_spill_count: 0
    .symbol:         _ZN9rocsolver6v33100L16mfma_gemm_kernelI19rocblas_complex_numIdEiPKS3_PKPS3_S8_S8_EEv18rocblas_operation_S9_T0_SA_SA_T1_T2_lSA_SA_lT3_lSA_SA_lSB_T4_lSA_SA_l.kd
    .uniform_work_group_size: 1
    .uses_dynamic_stack: false
    .vgpr_count:     0
    .vgpr_spill_count: 0
    .wavefront_size: 32
  - .args:
      - .offset:         0
        .size:           4
        .value_kind:     by_value
      - .offset:         4
        .size:           4
        .value_kind:     by_value
      - .offset:         8
        .size:           4
        .value_kind:     by_value
      - .offset:         12
        .size:           4
        .value_kind:     by_value
      - .offset:         16
        .size:           4
        .value_kind:     by_value
      - .offset:         24
        .size:           16
        .value_kind:     by_value
      - .address_space:  global
        .offset:         40
        .size:           8
        .value_kind:     global_buffer
      - .offset:         48
        .size:           8
        .value_kind:     by_value
      - .offset:         56
        .size:           4
        .value_kind:     by_value
      - .offset:         60
        .size:           4
        .value_kind:     by_value
      - .offset:         64
        .size:           8
        .value_kind:     by_value
      - .address_space:  global
        .offset:         72
        .size:           8
        .value_kind:     global_buffer
      - .offset:         80
        .size:           8
        .value_kind:     by_value
      - .offset:         88
        .size:           4
        .value_kind:     by_value
      - .offset:         92
        .size:           4
        .value_kind:     by_value
      - .offset:         96
        .size:           8
        .value_kind:     by_value
      - .offset:         104
        .size:           16
        .value_kind:     by_value
      - .address_space:  global
        .offset:         120
        .size:           8
        .value_kind:     global_buffer
      - .offset:         128
        .size:           8
        .value_kind:     by_value
      - .offset:         136
        .size:           4
        .value_kind:     by_value
      - .offset:         140
        .size:           4
        .value_kind:     by_value
      - .offset:         144
        .size:           8
        .value_kind:     by_value
    .group_segment_fixed_size: 0
    .kernarg_segment_align: 8
    .kernarg_segment_size: 152
    .language:       OpenCL C
    .language_version:
      - 2
      - 0
    .max_flat_workgroup_size: 1024
    .name:           _ZN9rocsolver6v33100L16mfma_gemm_kernelI19rocblas_complex_numIdEiS3_PKPS3_S6_S6_EEv18rocblas_operation_S7_T0_S8_S8_T1_T2_lS8_S8_lT3_lS8_S8_lS9_T4_lS8_S8_l
    .private_segment_fixed_size: 0
    .sgpr_count:     0
    .sgpr_spill_count: 0
    .symbol:         _ZN9rocsolver6v33100L16mfma_gemm_kernelI19rocblas_complex_numIdEiS3_PKPS3_S6_S6_EEv18rocblas_operation_S7_T0_S8_S8_T1_T2_lS8_S8_lT3_lS8_S8_lS9_T4_lS8_S8_l.kd
    .uniform_work_group_size: 1
    .uses_dynamic_stack: false
    .vgpr_count:     0
    .vgpr_spill_count: 0
    .wavefront_size: 32
  - .args:
      - .offset:         0
        .size:           4
        .value_kind:     by_value
      - .offset:         4
        .size:           4
        .value_kind:     by_value
      - .offset:         8
        .size:           4
        .value_kind:     by_value
      - .address_space:  global
        .offset:         16
        .size:           8
        .value_kind:     global_buffer
      - .offset:         24
        .size:           1
        .value_kind:     by_value
      - .address_space:  global
        .offset:         32
        .size:           8
        .value_kind:     global_buffer
      - .offset:         40
        .size:           8
        .value_kind:     by_value
      - .offset:         48
        .size:           4
        .value_kind:     by_value
      - .offset:         52
        .size:           4
        .value_kind:     by_value
      - .offset:         56
        .size:           8
        .value_kind:     by_value
      - .offset:         64
        .size:           1
        .value_kind:     by_value
      - .address_space:  global
        .offset:         72
        .size:           8
        .value_kind:     global_buffer
      - .offset:         80
        .size:           8
        .value_kind:     by_value
      - .offset:         88
        .size:           4
        .value_kind:     by_value
      - .offset:         92
        .size:           4
        .value_kind:     by_value
      - .offset:         96
        .size:           8
        .value_kind:     by_value
      - .address_space:  global
        .offset:         104
        .size:           8
        .value_kind:     global_buffer
      - .address_space:  global
        .offset:         112
        .size:           8
        .value_kind:     global_buffer
      - .offset:         120
        .size:           8
        .value_kind:     by_value
      - .offset:         128
        .size:           4
        .value_kind:     by_value
      - .offset:         132
        .size:           4
        .value_kind:     by_value
      - .offset:         136
        .size:           8
        .value_kind:     by_value
      - .offset:         144
        .size:           4
        .value_kind:     hidden_block_count_x
      - .offset:         148
        .size:           4
        .value_kind:     hidden_block_count_y
      - .offset:         152
        .size:           4
        .value_kind:     hidden_block_count_z
      - .offset:         156
        .size:           2
        .value_kind:     hidden_group_size_x
      - .offset:         158
        .size:           2
        .value_kind:     hidden_group_size_y
      - .offset:         160
        .size:           2
        .value_kind:     hidden_group_size_z
      - .offset:         162
        .size:           2
        .value_kind:     hidden_remainder_x
      - .offset:         164
        .size:           2
        .value_kind:     hidden_remainder_y
      - .offset:         166
        .size:           2
        .value_kind:     hidden_remainder_z
      - .offset:         184
        .size:           8
        .value_kind:     hidden_global_offset_x
      - .offset:         192
        .size:           8
        .value_kind:     hidden_global_offset_y
      - .offset:         200
        .size:           8
        .value_kind:     hidden_global_offset_z
      - .offset:         208
        .size:           2
        .value_kind:     hidden_grid_dims
    .group_segment_fixed_size: 0
    .kernarg_segment_align: 8
    .kernarg_segment_size: 400
    .language:       OpenCL C
    .language_version:
      - 2
      - 0
    .max_flat_workgroup_size: 1024
    .name:           _ZN9rocsolver6v33100L11gemm_kernelI19rocblas_complex_numIdEiPKS3_PKPS3_S8_S8_EEvT0_S9_S9_T1_bT2_lS9_S9_lbT3_lS9_S9_lSA_T4_lS9_S9_l
    .private_segment_fixed_size: 0
    .sgpr_count:     32
    .sgpr_spill_count: 0
    .symbol:         _ZN9rocsolver6v33100L11gemm_kernelI19rocblas_complex_numIdEiPKS3_PKPS3_S8_S8_EEvT0_S9_S9_T1_bT2_lS9_S9_lbT3_lS9_S9_lSA_T4_lS9_S9_l.kd
    .uniform_work_group_size: 1
    .uses_dynamic_stack: false
    .vgpr_count:     20
    .vgpr_spill_count: 0
    .wavefront_size: 32
  - .args:
      - .offset:         0
        .size:           4
        .value_kind:     by_value
      - .offset:         4
        .size:           4
        .value_kind:     by_value
      - .offset:         8
        .size:           4
        .value_kind:     by_value
      - .offset:         16
        .size:           16
        .value_kind:     by_value
      - .offset:         32
        .size:           1
        .value_kind:     by_value
      - .address_space:  global
        .offset:         40
        .size:           8
        .value_kind:     global_buffer
      - .offset:         48
        .size:           8
        .value_kind:     by_value
      - .offset:         56
        .size:           4
        .value_kind:     by_value
      - .offset:         60
        .size:           4
        .value_kind:     by_value
      - .offset:         64
        .size:           8
        .value_kind:     by_value
      - .offset:         72
        .size:           1
        .value_kind:     by_value
      - .address_space:  global
        .offset:         80
        .size:           8
        .value_kind:     global_buffer
      - .offset:         88
        .size:           8
        .value_kind:     by_value
      - .offset:         96
        .size:           4
        .value_kind:     by_value
      - .offset:         100
        .size:           4
        .value_kind:     by_value
      - .offset:         104
        .size:           8
        .value_kind:     by_value
      - .offset:         112
        .size:           16
        .value_kind:     by_value
      - .address_space:  global
        .offset:         128
        .size:           8
        .value_kind:     global_buffer
      - .offset:         136
        .size:           8
        .value_kind:     by_value
      - .offset:         144
        .size:           4
        .value_kind:     by_value
      - .offset:         148
        .size:           4
        .value_kind:     by_value
      - .offset:         152
        .size:           8
        .value_kind:     by_value
      - .offset:         160
        .size:           4
        .value_kind:     hidden_block_count_x
      - .offset:         164
        .size:           4
        .value_kind:     hidden_block_count_y
      - .offset:         168
        .size:           4
        .value_kind:     hidden_block_count_z
      - .offset:         172
        .size:           2
        .value_kind:     hidden_group_size_x
      - .offset:         174
        .size:           2
        .value_kind:     hidden_group_size_y
      - .offset:         176
        .size:           2
        .value_kind:     hidden_group_size_z
      - .offset:         178
        .size:           2
        .value_kind:     hidden_remainder_x
      - .offset:         180
        .size:           2
        .value_kind:     hidden_remainder_y
      - .offset:         182
        .size:           2
        .value_kind:     hidden_remainder_z
      - .offset:         200
        .size:           8
        .value_kind:     hidden_global_offset_x
      - .offset:         208
        .size:           8
        .value_kind:     hidden_global_offset_y
      - .offset:         216
        .size:           8
        .value_kind:     hidden_global_offset_z
      - .offset:         224
        .size:           2
        .value_kind:     hidden_grid_dims
    .group_segment_fixed_size: 0
    .kernarg_segment_align: 8
    .kernarg_segment_size: 416
    .language:       OpenCL C
    .language_version:
      - 2
      - 0
    .max_flat_workgroup_size: 1024
    .name:           _ZN9rocsolver6v33100L11gemm_kernelI19rocblas_complex_numIdEiS3_PKPS3_S6_S6_EEvT0_S7_S7_T1_bT2_lS7_S7_lbT3_lS7_S7_lS8_T4_lS7_S7_l
    .private_segment_fixed_size: 0
    .sgpr_count:     32
    .sgpr_spill_count: 0
    .symbol:         _ZN9rocsolver6v33100L11gemm_kernelI19rocblas_complex_numIdEiS3_PKPS3_S6_S6_EEvT0_S7_S7_T1_bT2_lS7_S7_lbT3_lS7_S7_lS8_T4_lS7_S7_l.kd
    .uniform_work_group_size: 1
    .uses_dynamic_stack: false
    .vgpr_count:     20
    .vgpr_spill_count: 0
    .wavefront_size: 32
  - .args:
      - .address_space:  global
        .offset:         0
        .size:           8
        .value_kind:     global_buffer
      - .address_space:  global
        .offset:         8
        .size:           8
        .value_kind:     global_buffer
      - .offset:         16
        .size:           8
        .value_kind:     by_value
      - .offset:         24
        .size:           4
        .value_kind:     by_value
      - .offset:         32
        .size:           4
        .value_kind:     hidden_block_count_x
      - .offset:         36
        .size:           4
        .value_kind:     hidden_block_count_y
      - .offset:         40
        .size:           4
        .value_kind:     hidden_block_count_z
      - .offset:         44
        .size:           2
        .value_kind:     hidden_group_size_x
      - .offset:         46
        .size:           2
        .value_kind:     hidden_group_size_y
      - .offset:         48
        .size:           2
        .value_kind:     hidden_group_size_z
      - .offset:         50
        .size:           2
        .value_kind:     hidden_remainder_x
      - .offset:         52
        .size:           2
        .value_kind:     hidden_remainder_y
      - .offset:         54
        .size:           2
        .value_kind:     hidden_remainder_z
      - .offset:         72
        .size:           8
        .value_kind:     hidden_global_offset_x
      - .offset:         80
        .size:           8
        .value_kind:     hidden_global_offset_y
      - .offset:         88
        .size:           8
        .value_kind:     hidden_global_offset_z
      - .offset:         96
        .size:           2
        .value_kind:     hidden_grid_dims
    .group_segment_fixed_size: 0
    .kernarg_segment_align: 8
    .kernarg_segment_size: 288
    .language:       OpenCL C
    .language_version:
      - 2
      - 0
    .max_flat_workgroup_size: 1024
    .name:           _ZN9rocsolver6v33100L9get_arrayI19rocblas_complex_numIdEiEEvPPT_S5_lT0_
    .private_segment_fixed_size: 0
    .sgpr_count:     7
    .sgpr_spill_count: 0
    .symbol:         _ZN9rocsolver6v33100L9get_arrayI19rocblas_complex_numIdEiEEvPPT_S5_lT0_.kd
    .uniform_work_group_size: 1
    .uses_dynamic_stack: false
    .vgpr_count:     4
    .vgpr_spill_count: 0
    .wavefront_size: 32
  - .args:
      - .offset:         0
        .size:           4
        .value_kind:     by_value
      - .offset:         4
        .size:           4
        .value_kind:     by_value
      - .offset:         8
        .size:           4
        .value_kind:     by_value
      - .offset:         12
        .size:           4
        .value_kind:     by_value
      - .offset:         16
        .size:           4
        .value_kind:     by_value
      - .address_space:  global
        .offset:         24
        .size:           8
        .value_kind:     global_buffer
      - .address_space:  global
        .offset:         32
        .size:           8
        .value_kind:     global_buffer
      - .offset:         40
        .size:           8
        .value_kind:     by_value
      - .offset:         48
        .size:           4
        .value_kind:     by_value
      - .offset:         52
        .size:           4
        .value_kind:     by_value
      - .offset:         56
        .size:           8
        .value_kind:     by_value
      - .address_space:  global
        .offset:         64
        .size:           8
        .value_kind:     global_buffer
      - .offset:         72
        .size:           8
        .value_kind:     by_value
      - .offset:         80
        .size:           4
        .value_kind:     by_value
      - .offset:         84
        .size:           4
        .value_kind:     by_value
      - .offset:         88
        .size:           8
        .value_kind:     by_value
      - .address_space:  global
        .offset:         96
        .size:           8
        .value_kind:     global_buffer
      - .address_space:  global
        .offset:         104
        .size:           8
        .value_kind:     global_buffer
      - .offset:         112
        .size:           8
        .value_kind:     by_value
      - .offset:         120
        .size:           4
        .value_kind:     by_value
      - .offset:         124
        .size:           4
        .value_kind:     by_value
      - .offset:         128
        .size:           8
        .value_kind:     by_value
    .group_segment_fixed_size: 0
    .kernarg_segment_align: 8
    .kernarg_segment_size: 136
    .language:       OpenCL C
    .language_version:
      - 2
      - 0
    .max_flat_workgroup_size: 1024
    .name:           _ZN9rocsolver6v33100L16mfma_gemm_kernelI19rocblas_complex_numIdEiPKS3_PS3_PKS6_S8_EEv18rocblas_operation_S9_T0_SA_SA_T1_T2_lSA_SA_lT3_lSA_SA_lSB_T4_lSA_SA_l
    .private_segment_fixed_size: 0
    .sgpr_count:     0
    .sgpr_spill_count: 0
    .symbol:         _ZN9rocsolver6v33100L16mfma_gemm_kernelI19rocblas_complex_numIdEiPKS3_PS3_PKS6_S8_EEv18rocblas_operation_S9_T0_SA_SA_T1_T2_lSA_SA_lT3_lSA_SA_lSB_T4_lSA_SA_l.kd
    .uniform_work_group_size: 1
    .uses_dynamic_stack: false
    .vgpr_count:     0
    .vgpr_spill_count: 0
    .wavefront_size: 32
  - .args:
      - .offset:         0
        .size:           4
        .value_kind:     by_value
      - .offset:         4
        .size:           4
        .value_kind:     by_value
      - .offset:         8
        .size:           4
        .value_kind:     by_value
      - .offset:         12
        .size:           4
        .value_kind:     by_value
      - .offset:         16
        .size:           4
        .value_kind:     by_value
      - .offset:         24
        .size:           16
        .value_kind:     by_value
      - .address_space:  global
        .offset:         40
        .size:           8
        .value_kind:     global_buffer
      - .offset:         48
        .size:           8
        .value_kind:     by_value
      - .offset:         56
        .size:           4
        .value_kind:     by_value
      - .offset:         60
        .size:           4
        .value_kind:     by_value
      - .offset:         64
        .size:           8
        .value_kind:     by_value
      - .address_space:  global
        .offset:         72
        .size:           8
        .value_kind:     global_buffer
      - .offset:         80
        .size:           8
        .value_kind:     by_value
      - .offset:         88
        .size:           4
        .value_kind:     by_value
      - .offset:         92
        .size:           4
        .value_kind:     by_value
      - .offset:         96
        .size:           8
        .value_kind:     by_value
      - .offset:         104
        .size:           16
        .value_kind:     by_value
      - .address_space:  global
        .offset:         120
        .size:           8
        .value_kind:     global_buffer
      - .offset:         128
        .size:           8
        .value_kind:     by_value
      - .offset:         136
        .size:           4
        .value_kind:     by_value
      - .offset:         140
        .size:           4
        .value_kind:     by_value
      - .offset:         144
        .size:           8
        .value_kind:     by_value
    .group_segment_fixed_size: 0
    .kernarg_segment_align: 8
    .kernarg_segment_size: 152
    .language:       OpenCL C
    .language_version:
      - 2
      - 0
    .max_flat_workgroup_size: 1024
    .name:           _ZN9rocsolver6v33100L16mfma_gemm_kernelI19rocblas_complex_numIdEiS3_PS3_PKS4_S6_EEv18rocblas_operation_S7_T0_S8_S8_T1_T2_lS8_S8_lT3_lS8_S8_lS9_T4_lS8_S8_l
    .private_segment_fixed_size: 0
    .sgpr_count:     0
    .sgpr_spill_count: 0
    .symbol:         _ZN9rocsolver6v33100L16mfma_gemm_kernelI19rocblas_complex_numIdEiS3_PS3_PKS4_S6_EEv18rocblas_operation_S7_T0_S8_S8_T1_T2_lS8_S8_lT3_lS8_S8_lS9_T4_lS8_S8_l.kd
    .uniform_work_group_size: 1
    .uses_dynamic_stack: false
    .vgpr_count:     0
    .vgpr_spill_count: 0
    .wavefront_size: 32
  - .args:
      - .offset:         0
        .size:           4
        .value_kind:     by_value
      - .offset:         4
        .size:           4
        .value_kind:     by_value
      - .offset:         8
        .size:           4
        .value_kind:     by_value
      - .address_space:  global
        .offset:         16
        .size:           8
        .value_kind:     global_buffer
      - .offset:         24
        .size:           1
        .value_kind:     by_value
      - .address_space:  global
        .offset:         32
        .size:           8
        .value_kind:     global_buffer
      - .offset:         40
        .size:           8
        .value_kind:     by_value
      - .offset:         48
        .size:           4
        .value_kind:     by_value
      - .offset:         52
        .size:           4
        .value_kind:     by_value
      - .offset:         56
        .size:           8
        .value_kind:     by_value
      - .offset:         64
        .size:           1
        .value_kind:     by_value
      - .address_space:  global
        .offset:         72
        .size:           8
        .value_kind:     global_buffer
      - .offset:         80
        .size:           8
        .value_kind:     by_value
      - .offset:         88
        .size:           4
        .value_kind:     by_value
      - .offset:         92
        .size:           4
        .value_kind:     by_value
      - .offset:         96
        .size:           8
        .value_kind:     by_value
      - .address_space:  global
        .offset:         104
        .size:           8
        .value_kind:     global_buffer
      - .address_space:  global
        .offset:         112
        .size:           8
        .value_kind:     global_buffer
      - .offset:         120
        .size:           8
        .value_kind:     by_value
      - .offset:         128
        .size:           4
        .value_kind:     by_value
      - .offset:         132
        .size:           4
        .value_kind:     by_value
      - .offset:         136
        .size:           8
        .value_kind:     by_value
      - .offset:         144
        .size:           4
        .value_kind:     hidden_block_count_x
      - .offset:         148
        .size:           4
        .value_kind:     hidden_block_count_y
      - .offset:         152
        .size:           4
        .value_kind:     hidden_block_count_z
      - .offset:         156
        .size:           2
        .value_kind:     hidden_group_size_x
      - .offset:         158
        .size:           2
        .value_kind:     hidden_group_size_y
      - .offset:         160
        .size:           2
        .value_kind:     hidden_group_size_z
      - .offset:         162
        .size:           2
        .value_kind:     hidden_remainder_x
      - .offset:         164
        .size:           2
        .value_kind:     hidden_remainder_y
      - .offset:         166
        .size:           2
        .value_kind:     hidden_remainder_z
      - .offset:         184
        .size:           8
        .value_kind:     hidden_global_offset_x
      - .offset:         192
        .size:           8
        .value_kind:     hidden_global_offset_y
      - .offset:         200
        .size:           8
        .value_kind:     hidden_global_offset_z
      - .offset:         208
        .size:           2
        .value_kind:     hidden_grid_dims
    .group_segment_fixed_size: 0
    .kernarg_segment_align: 8
    .kernarg_segment_size: 400
    .language:       OpenCL C
    .language_version:
      - 2
      - 0
    .max_flat_workgroup_size: 1024
    .name:           _ZN9rocsolver6v33100L11gemm_kernelI19rocblas_complex_numIdEiPKS3_PS3_PKS6_S8_EEvT0_S9_S9_T1_bT2_lS9_S9_lbT3_lS9_S9_lSA_T4_lS9_S9_l
    .private_segment_fixed_size: 0
    .sgpr_count:     32
    .sgpr_spill_count: 0
    .symbol:         _ZN9rocsolver6v33100L11gemm_kernelI19rocblas_complex_numIdEiPKS3_PS3_PKS6_S8_EEvT0_S9_S9_T1_bT2_lS9_S9_lbT3_lS9_S9_lSA_T4_lS9_S9_l.kd
    .uniform_work_group_size: 1
    .uses_dynamic_stack: false
    .vgpr_count:     20
    .vgpr_spill_count: 0
    .wavefront_size: 32
  - .args:
      - .offset:         0
        .size:           4
        .value_kind:     by_value
      - .offset:         4
        .size:           4
        .value_kind:     by_value
      - .offset:         8
        .size:           4
        .value_kind:     by_value
      - .offset:         16
        .size:           16
        .value_kind:     by_value
      - .offset:         32
        .size:           1
        .value_kind:     by_value
      - .address_space:  global
        .offset:         40
        .size:           8
        .value_kind:     global_buffer
      - .offset:         48
        .size:           8
        .value_kind:     by_value
      - .offset:         56
        .size:           4
        .value_kind:     by_value
      - .offset:         60
        .size:           4
        .value_kind:     by_value
      - .offset:         64
        .size:           8
        .value_kind:     by_value
      - .offset:         72
        .size:           1
        .value_kind:     by_value
      - .address_space:  global
        .offset:         80
        .size:           8
        .value_kind:     global_buffer
      - .offset:         88
        .size:           8
        .value_kind:     by_value
      - .offset:         96
        .size:           4
        .value_kind:     by_value
      - .offset:         100
        .size:           4
        .value_kind:     by_value
      - .offset:         104
        .size:           8
        .value_kind:     by_value
      - .offset:         112
        .size:           16
        .value_kind:     by_value
      - .address_space:  global
        .offset:         128
        .size:           8
        .value_kind:     global_buffer
      - .offset:         136
        .size:           8
        .value_kind:     by_value
      - .offset:         144
        .size:           4
        .value_kind:     by_value
      - .offset:         148
        .size:           4
        .value_kind:     by_value
      - .offset:         152
        .size:           8
        .value_kind:     by_value
      - .offset:         160
        .size:           4
        .value_kind:     hidden_block_count_x
      - .offset:         164
        .size:           4
        .value_kind:     hidden_block_count_y
      - .offset:         168
        .size:           4
        .value_kind:     hidden_block_count_z
      - .offset:         172
        .size:           2
        .value_kind:     hidden_group_size_x
      - .offset:         174
        .size:           2
        .value_kind:     hidden_group_size_y
      - .offset:         176
        .size:           2
        .value_kind:     hidden_group_size_z
      - .offset:         178
        .size:           2
        .value_kind:     hidden_remainder_x
      - .offset:         180
        .size:           2
        .value_kind:     hidden_remainder_y
      - .offset:         182
        .size:           2
        .value_kind:     hidden_remainder_z
      - .offset:         200
        .size:           8
        .value_kind:     hidden_global_offset_x
      - .offset:         208
        .size:           8
        .value_kind:     hidden_global_offset_y
      - .offset:         216
        .size:           8
        .value_kind:     hidden_global_offset_z
      - .offset:         224
        .size:           2
        .value_kind:     hidden_grid_dims
    .group_segment_fixed_size: 0
    .kernarg_segment_align: 8
    .kernarg_segment_size: 416
    .language:       OpenCL C
    .language_version:
      - 2
      - 0
    .max_flat_workgroup_size: 1024
    .name:           _ZN9rocsolver6v33100L11gemm_kernelI19rocblas_complex_numIdEiS3_PS3_PKS4_S6_EEvT0_S7_S7_T1_bT2_lS7_S7_lbT3_lS7_S7_lS8_T4_lS7_S7_l
    .private_segment_fixed_size: 0
    .sgpr_count:     32
    .sgpr_spill_count: 0
    .symbol:         _ZN9rocsolver6v33100L11gemm_kernelI19rocblas_complex_numIdEiS3_PS3_PKS4_S6_EEvT0_S7_S7_T1_bT2_lS7_S7_lbT3_lS7_S7_lS8_T4_lS7_S7_l.kd
    .uniform_work_group_size: 1
    .uses_dynamic_stack: false
    .vgpr_count:     20
    .vgpr_spill_count: 0
    .wavefront_size: 32
  - .args:
      - .offset:         0
        .size:           4
        .value_kind:     by_value
      - .offset:         4
        .size:           4
        .value_kind:     by_value
      - .offset:         8
        .size:           4
        .value_kind:     by_value
      - .offset:         12
        .size:           4
        .value_kind:     by_value
      - .offset:         16
        .size:           4
        .value_kind:     by_value
      - .address_space:  global
        .offset:         24
        .size:           8
        .value_kind:     global_buffer
      - .address_space:  global
        .offset:         32
        .size:           8
        .value_kind:     global_buffer
      - .offset:         40
        .size:           8
        .value_kind:     by_value
      - .offset:         48
        .size:           4
        .value_kind:     by_value
      - .offset:         52
        .size:           4
        .value_kind:     by_value
      - .offset:         56
        .size:           8
        .value_kind:     by_value
      - .address_space:  global
        .offset:         64
        .size:           8
        .value_kind:     global_buffer
      - .offset:         72
        .size:           8
        .value_kind:     by_value
      - .offset:         80
        .size:           4
        .value_kind:     by_value
      - .offset:         84
        .size:           4
        .value_kind:     by_value
      - .offset:         88
        .size:           8
        .value_kind:     by_value
      - .address_space:  global
        .offset:         96
        .size:           8
        .value_kind:     global_buffer
      - .address_space:  global
        .offset:         104
        .size:           8
        .value_kind:     global_buffer
      - .offset:         112
        .size:           8
        .value_kind:     by_value
      - .offset:         120
        .size:           4
        .value_kind:     by_value
      - .offset:         124
        .size:           4
        .value_kind:     by_value
      - .offset:         128
        .size:           8
        .value_kind:     by_value
    .group_segment_fixed_size: 0
    .kernarg_segment_align: 8
    .kernarg_segment_size: 136
    .language:       OpenCL C
    .language_version:
      - 2
      - 0
    .max_flat_workgroup_size: 1024
    .name:           _ZN9rocsolver6v33100L16mfma_gemm_kernelI19rocblas_complex_numIdEiPKS3_PKPS3_S6_S8_EEv18rocblas_operation_S9_T0_SA_SA_T1_T2_lSA_SA_lT3_lSA_SA_lSB_T4_lSA_SA_l
    .private_segment_fixed_size: 0
    .sgpr_count:     0
    .sgpr_spill_count: 0
    .symbol:         _ZN9rocsolver6v33100L16mfma_gemm_kernelI19rocblas_complex_numIdEiPKS3_PKPS3_S6_S8_EEv18rocblas_operation_S9_T0_SA_SA_T1_T2_lSA_SA_lT3_lSA_SA_lSB_T4_lSA_SA_l.kd
    .uniform_work_group_size: 1
    .uses_dynamic_stack: false
    .vgpr_count:     0
    .vgpr_spill_count: 0
    .wavefront_size: 32
  - .args:
      - .offset:         0
        .size:           4
        .value_kind:     by_value
      - .offset:         4
        .size:           4
        .value_kind:     by_value
      - .offset:         8
        .size:           4
        .value_kind:     by_value
      - .offset:         12
        .size:           4
        .value_kind:     by_value
      - .offset:         16
        .size:           4
        .value_kind:     by_value
      - .offset:         24
        .size:           16
        .value_kind:     by_value
      - .address_space:  global
        .offset:         40
        .size:           8
        .value_kind:     global_buffer
      - .offset:         48
        .size:           8
        .value_kind:     by_value
      - .offset:         56
        .size:           4
        .value_kind:     by_value
      - .offset:         60
        .size:           4
        .value_kind:     by_value
      - .offset:         64
        .size:           8
        .value_kind:     by_value
      - .address_space:  global
        .offset:         72
        .size:           8
        .value_kind:     global_buffer
      - .offset:         80
        .size:           8
        .value_kind:     by_value
      - .offset:         88
        .size:           4
        .value_kind:     by_value
      - .offset:         92
        .size:           4
        .value_kind:     by_value
      - .offset:         96
        .size:           8
        .value_kind:     by_value
      - .offset:         104
        .size:           16
        .value_kind:     by_value
      - .address_space:  global
        .offset:         120
        .size:           8
        .value_kind:     global_buffer
      - .offset:         128
        .size:           8
        .value_kind:     by_value
      - .offset:         136
        .size:           4
        .value_kind:     by_value
      - .offset:         140
        .size:           4
        .value_kind:     by_value
      - .offset:         144
        .size:           8
        .value_kind:     by_value
    .group_segment_fixed_size: 0
    .kernarg_segment_align: 8
    .kernarg_segment_size: 152
    .language:       OpenCL C
    .language_version:
      - 2
      - 0
    .max_flat_workgroup_size: 1024
    .name:           _ZN9rocsolver6v33100L16mfma_gemm_kernelI19rocblas_complex_numIdEiS3_PKPS3_S4_S6_EEv18rocblas_operation_S7_T0_S8_S8_T1_T2_lS8_S8_lT3_lS8_S8_lS9_T4_lS8_S8_l
    .private_segment_fixed_size: 0
    .sgpr_count:     0
    .sgpr_spill_count: 0
    .symbol:         _ZN9rocsolver6v33100L16mfma_gemm_kernelI19rocblas_complex_numIdEiS3_PKPS3_S4_S6_EEv18rocblas_operation_S7_T0_S8_S8_T1_T2_lS8_S8_lT3_lS8_S8_lS9_T4_lS8_S8_l.kd
    .uniform_work_group_size: 1
    .uses_dynamic_stack: false
    .vgpr_count:     0
    .vgpr_spill_count: 0
    .wavefront_size: 32
  - .args:
      - .offset:         0
        .size:           4
        .value_kind:     by_value
      - .offset:         4
        .size:           4
        .value_kind:     by_value
      - .offset:         8
        .size:           4
        .value_kind:     by_value
      - .address_space:  global
        .offset:         16
        .size:           8
        .value_kind:     global_buffer
      - .offset:         24
        .size:           1
        .value_kind:     by_value
      - .address_space:  global
        .offset:         32
        .size:           8
        .value_kind:     global_buffer
      - .offset:         40
        .size:           8
        .value_kind:     by_value
      - .offset:         48
        .size:           4
        .value_kind:     by_value
      - .offset:         52
        .size:           4
        .value_kind:     by_value
      - .offset:         56
        .size:           8
        .value_kind:     by_value
      - .offset:         64
        .size:           1
        .value_kind:     by_value
      - .address_space:  global
        .offset:         72
        .size:           8
        .value_kind:     global_buffer
      - .offset:         80
        .size:           8
        .value_kind:     by_value
      - .offset:         88
        .size:           4
        .value_kind:     by_value
      - .offset:         92
        .size:           4
        .value_kind:     by_value
      - .offset:         96
        .size:           8
        .value_kind:     by_value
      - .address_space:  global
        .offset:         104
        .size:           8
        .value_kind:     global_buffer
      - .address_space:  global
        .offset:         112
        .size:           8
        .value_kind:     global_buffer
      - .offset:         120
        .size:           8
        .value_kind:     by_value
      - .offset:         128
        .size:           4
        .value_kind:     by_value
      - .offset:         132
        .size:           4
        .value_kind:     by_value
      - .offset:         136
        .size:           8
        .value_kind:     by_value
      - .offset:         144
        .size:           4
        .value_kind:     hidden_block_count_x
      - .offset:         148
        .size:           4
        .value_kind:     hidden_block_count_y
      - .offset:         152
        .size:           4
        .value_kind:     hidden_block_count_z
      - .offset:         156
        .size:           2
        .value_kind:     hidden_group_size_x
      - .offset:         158
        .size:           2
        .value_kind:     hidden_group_size_y
      - .offset:         160
        .size:           2
        .value_kind:     hidden_group_size_z
      - .offset:         162
        .size:           2
        .value_kind:     hidden_remainder_x
      - .offset:         164
        .size:           2
        .value_kind:     hidden_remainder_y
      - .offset:         166
        .size:           2
        .value_kind:     hidden_remainder_z
      - .offset:         184
        .size:           8
        .value_kind:     hidden_global_offset_x
      - .offset:         192
        .size:           8
        .value_kind:     hidden_global_offset_y
      - .offset:         200
        .size:           8
        .value_kind:     hidden_global_offset_z
      - .offset:         208
        .size:           2
        .value_kind:     hidden_grid_dims
    .group_segment_fixed_size: 0
    .kernarg_segment_align: 8
    .kernarg_segment_size: 400
    .language:       OpenCL C
    .language_version:
      - 2
      - 0
    .max_flat_workgroup_size: 1024
    .name:           _ZN9rocsolver6v33100L11gemm_kernelI19rocblas_complex_numIdEiPKS3_PKPS3_S6_S8_EEvT0_S9_S9_T1_bT2_lS9_S9_lbT3_lS9_S9_lSA_T4_lS9_S9_l
    .private_segment_fixed_size: 0
    .sgpr_count:     31
    .sgpr_spill_count: 0
    .symbol:         _ZN9rocsolver6v33100L11gemm_kernelI19rocblas_complex_numIdEiPKS3_PKPS3_S6_S8_EEvT0_S9_S9_T1_bT2_lS9_S9_lbT3_lS9_S9_lSA_T4_lS9_S9_l.kd
    .uniform_work_group_size: 1
    .uses_dynamic_stack: false
    .vgpr_count:     20
    .vgpr_spill_count: 0
    .wavefront_size: 32
  - .args:
      - .offset:         0
        .size:           4
        .value_kind:     by_value
      - .offset:         4
        .size:           4
        .value_kind:     by_value
      - .offset:         8
        .size:           4
        .value_kind:     by_value
      - .offset:         16
        .size:           16
        .value_kind:     by_value
      - .offset:         32
        .size:           1
        .value_kind:     by_value
      - .address_space:  global
        .offset:         40
        .size:           8
        .value_kind:     global_buffer
      - .offset:         48
        .size:           8
        .value_kind:     by_value
      - .offset:         56
        .size:           4
        .value_kind:     by_value
      - .offset:         60
        .size:           4
        .value_kind:     by_value
      - .offset:         64
        .size:           8
        .value_kind:     by_value
      - .offset:         72
        .size:           1
        .value_kind:     by_value
      - .address_space:  global
        .offset:         80
        .size:           8
        .value_kind:     global_buffer
      - .offset:         88
        .size:           8
        .value_kind:     by_value
      - .offset:         96
        .size:           4
        .value_kind:     by_value
      - .offset:         100
        .size:           4
        .value_kind:     by_value
      - .offset:         104
        .size:           8
        .value_kind:     by_value
      - .offset:         112
        .size:           16
        .value_kind:     by_value
      - .address_space:  global
        .offset:         128
        .size:           8
        .value_kind:     global_buffer
      - .offset:         136
        .size:           8
        .value_kind:     by_value
      - .offset:         144
        .size:           4
        .value_kind:     by_value
      - .offset:         148
        .size:           4
        .value_kind:     by_value
      - .offset:         152
        .size:           8
        .value_kind:     by_value
      - .offset:         160
        .size:           4
        .value_kind:     hidden_block_count_x
      - .offset:         164
        .size:           4
        .value_kind:     hidden_block_count_y
      - .offset:         168
        .size:           4
        .value_kind:     hidden_block_count_z
      - .offset:         172
        .size:           2
        .value_kind:     hidden_group_size_x
      - .offset:         174
        .size:           2
        .value_kind:     hidden_group_size_y
      - .offset:         176
        .size:           2
        .value_kind:     hidden_group_size_z
      - .offset:         178
        .size:           2
        .value_kind:     hidden_remainder_x
      - .offset:         180
        .size:           2
        .value_kind:     hidden_remainder_y
      - .offset:         182
        .size:           2
        .value_kind:     hidden_remainder_z
      - .offset:         200
        .size:           8
        .value_kind:     hidden_global_offset_x
      - .offset:         208
        .size:           8
        .value_kind:     hidden_global_offset_y
      - .offset:         216
        .size:           8
        .value_kind:     hidden_global_offset_z
      - .offset:         224
        .size:           2
        .value_kind:     hidden_grid_dims
    .group_segment_fixed_size: 0
    .kernarg_segment_align: 8
    .kernarg_segment_size: 416
    .language:       OpenCL C
    .language_version:
      - 2
      - 0
    .max_flat_workgroup_size: 1024
    .name:           _ZN9rocsolver6v33100L11gemm_kernelI19rocblas_complex_numIdEiS3_PKPS3_S4_S6_EEvT0_S7_S7_T1_bT2_lS7_S7_lbT3_lS7_S7_lS8_T4_lS7_S7_l
    .private_segment_fixed_size: 0
    .sgpr_count:     31
    .sgpr_spill_count: 0
    .symbol:         _ZN9rocsolver6v33100L11gemm_kernelI19rocblas_complex_numIdEiS3_PKPS3_S4_S6_EEvT0_S7_S7_T1_bT2_lS7_S7_lbT3_lS7_S7_lS8_T4_lS7_S7_l.kd
    .uniform_work_group_size: 1
    .uses_dynamic_stack: false
    .vgpr_count:     20
    .vgpr_spill_count: 0
    .wavefront_size: 32
  - .args:
      - .offset:         0
        .size:           4
        .value_kind:     by_value
      - .offset:         4
        .size:           4
        .value_kind:     by_value
      - .offset:         8
        .size:           4
        .value_kind:     by_value
      - .offset:         12
        .size:           4
        .value_kind:     by_value
      - .offset:         16
        .size:           4
        .value_kind:     by_value
      - .address_space:  global
        .offset:         24
        .size:           8
        .value_kind:     global_buffer
      - .address_space:  global
        .offset:         32
        .size:           8
        .value_kind:     global_buffer
      - .offset:         40
        .size:           8
        .value_kind:     by_value
      - .offset:         48
        .size:           4
        .value_kind:     by_value
      - .offset:         52
        .size:           4
        .value_kind:     by_value
      - .offset:         56
        .size:           8
        .value_kind:     by_value
      - .address_space:  global
        .offset:         64
        .size:           8
        .value_kind:     global_buffer
      - .offset:         72
        .size:           8
        .value_kind:     by_value
      - .offset:         80
        .size:           4
        .value_kind:     by_value
      - .offset:         84
        .size:           4
        .value_kind:     by_value
      - .offset:         88
        .size:           8
        .value_kind:     by_value
      - .address_space:  global
        .offset:         96
        .size:           8
        .value_kind:     global_buffer
      - .address_space:  global
        .offset:         104
        .size:           8
        .value_kind:     global_buffer
      - .offset:         112
        .size:           8
        .value_kind:     by_value
      - .offset:         120
        .size:           4
        .value_kind:     by_value
      - .offset:         124
        .size:           4
        .value_kind:     by_value
      - .offset:         128
        .size:           8
        .value_kind:     by_value
    .group_segment_fixed_size: 0
    .kernarg_segment_align: 8
    .kernarg_segment_size: 136
    .language:       OpenCL C
    .language_version:
      - 2
      - 0
    .max_flat_workgroup_size: 1024
    .name:           _ZN9rocsolver6v33100L16mfma_gemm_kernelI19rocblas_complex_numIdEiPKS3_PKPS3_S8_S6_EEv18rocblas_operation_S9_T0_SA_SA_T1_T2_lSA_SA_lT3_lSA_SA_lSB_T4_lSA_SA_l
    .private_segment_fixed_size: 0
    .sgpr_count:     0
    .sgpr_spill_count: 0
    .symbol:         _ZN9rocsolver6v33100L16mfma_gemm_kernelI19rocblas_complex_numIdEiPKS3_PKPS3_S8_S6_EEv18rocblas_operation_S9_T0_SA_SA_T1_T2_lSA_SA_lT3_lSA_SA_lSB_T4_lSA_SA_l.kd
    .uniform_work_group_size: 1
    .uses_dynamic_stack: false
    .vgpr_count:     0
    .vgpr_spill_count: 0
    .wavefront_size: 32
  - .args:
      - .offset:         0
        .size:           4
        .value_kind:     by_value
      - .offset:         4
        .size:           4
        .value_kind:     by_value
      - .offset:         8
        .size:           4
        .value_kind:     by_value
      - .offset:         12
        .size:           4
        .value_kind:     by_value
      - .offset:         16
        .size:           4
        .value_kind:     by_value
      - .offset:         24
        .size:           16
        .value_kind:     by_value
      - .address_space:  global
        .offset:         40
        .size:           8
        .value_kind:     global_buffer
      - .offset:         48
        .size:           8
        .value_kind:     by_value
      - .offset:         56
        .size:           4
        .value_kind:     by_value
      - .offset:         60
        .size:           4
        .value_kind:     by_value
      - .offset:         64
        .size:           8
        .value_kind:     by_value
      - .address_space:  global
        .offset:         72
        .size:           8
        .value_kind:     global_buffer
      - .offset:         80
        .size:           8
        .value_kind:     by_value
      - .offset:         88
        .size:           4
        .value_kind:     by_value
      - .offset:         92
        .size:           4
        .value_kind:     by_value
      - .offset:         96
        .size:           8
        .value_kind:     by_value
      - .offset:         104
        .size:           16
        .value_kind:     by_value
      - .address_space:  global
        .offset:         120
        .size:           8
        .value_kind:     global_buffer
      - .offset:         128
        .size:           8
        .value_kind:     by_value
      - .offset:         136
        .size:           4
        .value_kind:     by_value
      - .offset:         140
        .size:           4
        .value_kind:     by_value
      - .offset:         144
        .size:           8
        .value_kind:     by_value
    .group_segment_fixed_size: 0
    .kernarg_segment_align: 8
    .kernarg_segment_size: 152
    .language:       OpenCL C
    .language_version:
      - 2
      - 0
    .max_flat_workgroup_size: 1024
    .name:           _ZN9rocsolver6v33100L16mfma_gemm_kernelI19rocblas_complex_numIdEiS3_PKPS3_S6_S4_EEv18rocblas_operation_S7_T0_S8_S8_T1_T2_lS8_S8_lT3_lS8_S8_lS9_T4_lS8_S8_l
    .private_segment_fixed_size: 0
    .sgpr_count:     0
    .sgpr_spill_count: 0
    .symbol:         _ZN9rocsolver6v33100L16mfma_gemm_kernelI19rocblas_complex_numIdEiS3_PKPS3_S6_S4_EEv18rocblas_operation_S7_T0_S8_S8_T1_T2_lS8_S8_lT3_lS8_S8_lS9_T4_lS8_S8_l.kd
    .uniform_work_group_size: 1
    .uses_dynamic_stack: false
    .vgpr_count:     0
    .vgpr_spill_count: 0
    .wavefront_size: 32
  - .args:
      - .offset:         0
        .size:           4
        .value_kind:     by_value
      - .offset:         4
        .size:           4
        .value_kind:     by_value
      - .offset:         8
        .size:           4
        .value_kind:     by_value
      - .address_space:  global
        .offset:         16
        .size:           8
        .value_kind:     global_buffer
      - .offset:         24
        .size:           1
        .value_kind:     by_value
      - .address_space:  global
        .offset:         32
        .size:           8
        .value_kind:     global_buffer
      - .offset:         40
        .size:           8
        .value_kind:     by_value
      - .offset:         48
        .size:           4
        .value_kind:     by_value
      - .offset:         52
        .size:           4
        .value_kind:     by_value
      - .offset:         56
        .size:           8
        .value_kind:     by_value
      - .offset:         64
        .size:           1
        .value_kind:     by_value
      - .address_space:  global
        .offset:         72
        .size:           8
        .value_kind:     global_buffer
      - .offset:         80
        .size:           8
        .value_kind:     by_value
      - .offset:         88
        .size:           4
        .value_kind:     by_value
      - .offset:         92
        .size:           4
        .value_kind:     by_value
      - .offset:         96
        .size:           8
        .value_kind:     by_value
      - .address_space:  global
        .offset:         104
        .size:           8
        .value_kind:     global_buffer
      - .address_space:  global
        .offset:         112
        .size:           8
        .value_kind:     global_buffer
      - .offset:         120
        .size:           8
        .value_kind:     by_value
      - .offset:         128
        .size:           4
        .value_kind:     by_value
      - .offset:         132
        .size:           4
        .value_kind:     by_value
      - .offset:         136
        .size:           8
        .value_kind:     by_value
      - .offset:         144
        .size:           4
        .value_kind:     hidden_block_count_x
      - .offset:         148
        .size:           4
        .value_kind:     hidden_block_count_y
      - .offset:         152
        .size:           4
        .value_kind:     hidden_block_count_z
      - .offset:         156
        .size:           2
        .value_kind:     hidden_group_size_x
      - .offset:         158
        .size:           2
        .value_kind:     hidden_group_size_y
      - .offset:         160
        .size:           2
        .value_kind:     hidden_group_size_z
      - .offset:         162
        .size:           2
        .value_kind:     hidden_remainder_x
      - .offset:         164
        .size:           2
        .value_kind:     hidden_remainder_y
      - .offset:         166
        .size:           2
        .value_kind:     hidden_remainder_z
      - .offset:         184
        .size:           8
        .value_kind:     hidden_global_offset_x
      - .offset:         192
        .size:           8
        .value_kind:     hidden_global_offset_y
      - .offset:         200
        .size:           8
        .value_kind:     hidden_global_offset_z
      - .offset:         208
        .size:           2
        .value_kind:     hidden_grid_dims
    .group_segment_fixed_size: 0
    .kernarg_segment_align: 8
    .kernarg_segment_size: 400
    .language:       OpenCL C
    .language_version:
      - 2
      - 0
    .max_flat_workgroup_size: 1024
    .name:           _ZN9rocsolver6v33100L11gemm_kernelI19rocblas_complex_numIdEiPKS3_PKPS3_S8_S6_EEvT0_S9_S9_T1_bT2_lS9_S9_lbT3_lS9_S9_lSA_T4_lS9_S9_l
    .private_segment_fixed_size: 0
    .sgpr_count:     33
    .sgpr_spill_count: 0
    .symbol:         _ZN9rocsolver6v33100L11gemm_kernelI19rocblas_complex_numIdEiPKS3_PKPS3_S8_S6_EEvT0_S9_S9_T1_bT2_lS9_S9_lbT3_lS9_S9_lSA_T4_lS9_S9_l.kd
    .uniform_work_group_size: 1
    .uses_dynamic_stack: false
    .vgpr_count:     20
    .vgpr_spill_count: 0
    .wavefront_size: 32
  - .args:
      - .offset:         0
        .size:           4
        .value_kind:     by_value
      - .offset:         4
        .size:           4
        .value_kind:     by_value
      - .offset:         8
        .size:           4
        .value_kind:     by_value
      - .offset:         16
        .size:           16
        .value_kind:     by_value
      - .offset:         32
        .size:           1
        .value_kind:     by_value
      - .address_space:  global
        .offset:         40
        .size:           8
        .value_kind:     global_buffer
      - .offset:         48
        .size:           8
        .value_kind:     by_value
      - .offset:         56
        .size:           4
        .value_kind:     by_value
      - .offset:         60
        .size:           4
        .value_kind:     by_value
      - .offset:         64
        .size:           8
        .value_kind:     by_value
      - .offset:         72
        .size:           1
        .value_kind:     by_value
      - .address_space:  global
        .offset:         80
        .size:           8
        .value_kind:     global_buffer
      - .offset:         88
        .size:           8
        .value_kind:     by_value
      - .offset:         96
        .size:           4
        .value_kind:     by_value
      - .offset:         100
        .size:           4
        .value_kind:     by_value
      - .offset:         104
        .size:           8
        .value_kind:     by_value
      - .offset:         112
        .size:           16
        .value_kind:     by_value
      - .address_space:  global
        .offset:         128
        .size:           8
        .value_kind:     global_buffer
      - .offset:         136
        .size:           8
        .value_kind:     by_value
      - .offset:         144
        .size:           4
        .value_kind:     by_value
      - .offset:         148
        .size:           4
        .value_kind:     by_value
      - .offset:         152
        .size:           8
        .value_kind:     by_value
      - .offset:         160
        .size:           4
        .value_kind:     hidden_block_count_x
      - .offset:         164
        .size:           4
        .value_kind:     hidden_block_count_y
      - .offset:         168
        .size:           4
        .value_kind:     hidden_block_count_z
      - .offset:         172
        .size:           2
        .value_kind:     hidden_group_size_x
      - .offset:         174
        .size:           2
        .value_kind:     hidden_group_size_y
      - .offset:         176
        .size:           2
        .value_kind:     hidden_group_size_z
      - .offset:         178
        .size:           2
        .value_kind:     hidden_remainder_x
      - .offset:         180
        .size:           2
        .value_kind:     hidden_remainder_y
      - .offset:         182
        .size:           2
        .value_kind:     hidden_remainder_z
      - .offset:         200
        .size:           8
        .value_kind:     hidden_global_offset_x
      - .offset:         208
        .size:           8
        .value_kind:     hidden_global_offset_y
      - .offset:         216
        .size:           8
        .value_kind:     hidden_global_offset_z
      - .offset:         224
        .size:           2
        .value_kind:     hidden_grid_dims
    .group_segment_fixed_size: 0
    .kernarg_segment_align: 8
    .kernarg_segment_size: 416
    .language:       OpenCL C
    .language_version:
      - 2
      - 0
    .max_flat_workgroup_size: 1024
    .name:           _ZN9rocsolver6v33100L11gemm_kernelI19rocblas_complex_numIdEiS3_PKPS3_S6_S4_EEvT0_S7_S7_T1_bT2_lS7_S7_lbT3_lS7_S7_lS8_T4_lS7_S7_l
    .private_segment_fixed_size: 0
    .sgpr_count:     25
    .sgpr_spill_count: 0
    .symbol:         _ZN9rocsolver6v33100L11gemm_kernelI19rocblas_complex_numIdEiS3_PKPS3_S6_S4_EEvT0_S7_S7_T1_bT2_lS7_S7_lbT3_lS7_S7_lS8_T4_lS7_S7_l.kd
    .uniform_work_group_size: 1
    .uses_dynamic_stack: false
    .vgpr_count:     20
    .vgpr_spill_count: 0
    .wavefront_size: 32
  - .args:
      - .offset:         0
        .size:           4
        .value_kind:     by_value
      - .offset:         4
        .size:           4
        .value_kind:     by_value
      - .offset:         8
        .size:           4
        .value_kind:     by_value
      - .offset:         12
        .size:           4
        .value_kind:     by_value
      - .offset:         16
        .size:           4
        .value_kind:     by_value
      - .address_space:  global
        .offset:         24
        .size:           8
        .value_kind:     global_buffer
      - .address_space:  global
        .offset:         32
        .size:           8
        .value_kind:     global_buffer
      - .offset:         40
        .size:           8
        .value_kind:     by_value
      - .offset:         48
        .size:           4
        .value_kind:     by_value
      - .offset:         52
        .size:           4
        .value_kind:     by_value
      - .offset:         56
        .size:           8
        .value_kind:     by_value
      - .address_space:  global
        .offset:         64
        .size:           8
        .value_kind:     global_buffer
      - .offset:         72
        .size:           8
        .value_kind:     by_value
      - .offset:         80
        .size:           4
        .value_kind:     by_value
      - .offset:         84
        .size:           4
        .value_kind:     by_value
      - .offset:         88
        .size:           8
        .value_kind:     by_value
      - .address_space:  global
        .offset:         96
        .size:           8
        .value_kind:     global_buffer
      - .address_space:  global
        .offset:         104
        .size:           8
        .value_kind:     global_buffer
      - .offset:         112
        .size:           8
        .value_kind:     by_value
      - .offset:         120
        .size:           4
        .value_kind:     by_value
      - .offset:         124
        .size:           4
        .value_kind:     by_value
      - .offset:         128
        .size:           8
        .value_kind:     by_value
    .group_segment_fixed_size: 0
    .kernarg_segment_align: 8
    .kernarg_segment_size: 136
    .language:       OpenCL C
    .language_version:
      - 2
      - 0
    .max_flat_workgroup_size: 1024
    .name:           _ZN9rocsolver6v33100L16mfma_gemm_kernelI19rocblas_complex_numIdEiPKS3_PKPS3_S6_S6_EEv18rocblas_operation_S9_T0_SA_SA_T1_T2_lSA_SA_lT3_lSA_SA_lSB_T4_lSA_SA_l
    .private_segment_fixed_size: 0
    .sgpr_count:     0
    .sgpr_spill_count: 0
    .symbol:         _ZN9rocsolver6v33100L16mfma_gemm_kernelI19rocblas_complex_numIdEiPKS3_PKPS3_S6_S6_EEv18rocblas_operation_S9_T0_SA_SA_T1_T2_lSA_SA_lT3_lSA_SA_lSB_T4_lSA_SA_l.kd
    .uniform_work_group_size: 1
    .uses_dynamic_stack: false
    .vgpr_count:     0
    .vgpr_spill_count: 0
    .wavefront_size: 32
  - .args:
      - .offset:         0
        .size:           4
        .value_kind:     by_value
      - .offset:         4
        .size:           4
        .value_kind:     by_value
      - .offset:         8
        .size:           4
        .value_kind:     by_value
      - .offset:         12
        .size:           4
        .value_kind:     by_value
      - .offset:         16
        .size:           4
        .value_kind:     by_value
      - .offset:         24
        .size:           16
        .value_kind:     by_value
      - .address_space:  global
        .offset:         40
        .size:           8
        .value_kind:     global_buffer
      - .offset:         48
        .size:           8
        .value_kind:     by_value
      - .offset:         56
        .size:           4
        .value_kind:     by_value
      - .offset:         60
        .size:           4
        .value_kind:     by_value
      - .offset:         64
        .size:           8
        .value_kind:     by_value
      - .address_space:  global
        .offset:         72
        .size:           8
        .value_kind:     global_buffer
      - .offset:         80
        .size:           8
        .value_kind:     by_value
      - .offset:         88
        .size:           4
        .value_kind:     by_value
      - .offset:         92
        .size:           4
        .value_kind:     by_value
      - .offset:         96
        .size:           8
        .value_kind:     by_value
      - .offset:         104
        .size:           16
        .value_kind:     by_value
      - .address_space:  global
        .offset:         120
        .size:           8
        .value_kind:     global_buffer
      - .offset:         128
        .size:           8
        .value_kind:     by_value
      - .offset:         136
        .size:           4
        .value_kind:     by_value
      - .offset:         140
        .size:           4
        .value_kind:     by_value
      - .offset:         144
        .size:           8
        .value_kind:     by_value
    .group_segment_fixed_size: 0
    .kernarg_segment_align: 8
    .kernarg_segment_size: 152
    .language:       OpenCL C
    .language_version:
      - 2
      - 0
    .max_flat_workgroup_size: 1024
    .name:           _ZN9rocsolver6v33100L16mfma_gemm_kernelI19rocblas_complex_numIdEiS3_PKPS3_S4_S4_EEv18rocblas_operation_S7_T0_S8_S8_T1_T2_lS8_S8_lT3_lS8_S8_lS9_T4_lS8_S8_l
    .private_segment_fixed_size: 0
    .sgpr_count:     0
    .sgpr_spill_count: 0
    .symbol:         _ZN9rocsolver6v33100L16mfma_gemm_kernelI19rocblas_complex_numIdEiS3_PKPS3_S4_S4_EEv18rocblas_operation_S7_T0_S8_S8_T1_T2_lS8_S8_lT3_lS8_S8_lS9_T4_lS8_S8_l.kd
    .uniform_work_group_size: 1
    .uses_dynamic_stack: false
    .vgpr_count:     0
    .vgpr_spill_count: 0
    .wavefront_size: 32
  - .args:
      - .offset:         0
        .size:           4
        .value_kind:     by_value
      - .offset:         4
        .size:           4
        .value_kind:     by_value
      - .offset:         8
        .size:           4
        .value_kind:     by_value
      - .address_space:  global
        .offset:         16
        .size:           8
        .value_kind:     global_buffer
      - .offset:         24
        .size:           1
        .value_kind:     by_value
      - .address_space:  global
        .offset:         32
        .size:           8
        .value_kind:     global_buffer
      - .offset:         40
        .size:           8
        .value_kind:     by_value
      - .offset:         48
        .size:           4
        .value_kind:     by_value
      - .offset:         52
        .size:           4
        .value_kind:     by_value
      - .offset:         56
        .size:           8
        .value_kind:     by_value
      - .offset:         64
        .size:           1
        .value_kind:     by_value
      - .address_space:  global
        .offset:         72
        .size:           8
        .value_kind:     global_buffer
      - .offset:         80
        .size:           8
        .value_kind:     by_value
      - .offset:         88
        .size:           4
        .value_kind:     by_value
      - .offset:         92
        .size:           4
        .value_kind:     by_value
      - .offset:         96
        .size:           8
        .value_kind:     by_value
      - .address_space:  global
        .offset:         104
        .size:           8
        .value_kind:     global_buffer
      - .address_space:  global
        .offset:         112
        .size:           8
        .value_kind:     global_buffer
      - .offset:         120
        .size:           8
        .value_kind:     by_value
      - .offset:         128
        .size:           4
        .value_kind:     by_value
      - .offset:         132
        .size:           4
        .value_kind:     by_value
      - .offset:         136
        .size:           8
        .value_kind:     by_value
      - .offset:         144
        .size:           4
        .value_kind:     hidden_block_count_x
      - .offset:         148
        .size:           4
        .value_kind:     hidden_block_count_y
      - .offset:         152
        .size:           4
        .value_kind:     hidden_block_count_z
      - .offset:         156
        .size:           2
        .value_kind:     hidden_group_size_x
      - .offset:         158
        .size:           2
        .value_kind:     hidden_group_size_y
      - .offset:         160
        .size:           2
        .value_kind:     hidden_group_size_z
      - .offset:         162
        .size:           2
        .value_kind:     hidden_remainder_x
      - .offset:         164
        .size:           2
        .value_kind:     hidden_remainder_y
      - .offset:         166
        .size:           2
        .value_kind:     hidden_remainder_z
      - .offset:         184
        .size:           8
        .value_kind:     hidden_global_offset_x
      - .offset:         192
        .size:           8
        .value_kind:     hidden_global_offset_y
      - .offset:         200
        .size:           8
        .value_kind:     hidden_global_offset_z
      - .offset:         208
        .size:           2
        .value_kind:     hidden_grid_dims
    .group_segment_fixed_size: 0
    .kernarg_segment_align: 8
    .kernarg_segment_size: 400
    .language:       OpenCL C
    .language_version:
      - 2
      - 0
    .max_flat_workgroup_size: 1024
    .name:           _ZN9rocsolver6v33100L11gemm_kernelI19rocblas_complex_numIdEiPKS3_PKPS3_S6_S6_EEvT0_S9_S9_T1_bT2_lS9_S9_lbT3_lS9_S9_lSA_T4_lS9_S9_l
    .private_segment_fixed_size: 0
    .sgpr_count:     31
    .sgpr_spill_count: 0
    .symbol:         _ZN9rocsolver6v33100L11gemm_kernelI19rocblas_complex_numIdEiPKS3_PKPS3_S6_S6_EEvT0_S9_S9_T1_bT2_lS9_S9_lbT3_lS9_S9_lSA_T4_lS9_S9_l.kd
    .uniform_work_group_size: 1
    .uses_dynamic_stack: false
    .vgpr_count:     20
    .vgpr_spill_count: 0
    .wavefront_size: 32
  - .args:
      - .offset:         0
        .size:           4
        .value_kind:     by_value
      - .offset:         4
        .size:           4
        .value_kind:     by_value
      - .offset:         8
        .size:           4
        .value_kind:     by_value
      - .offset:         16
        .size:           16
        .value_kind:     by_value
      - .offset:         32
        .size:           1
        .value_kind:     by_value
      - .address_space:  global
        .offset:         40
        .size:           8
        .value_kind:     global_buffer
      - .offset:         48
        .size:           8
        .value_kind:     by_value
      - .offset:         56
        .size:           4
        .value_kind:     by_value
      - .offset:         60
        .size:           4
        .value_kind:     by_value
      - .offset:         64
        .size:           8
        .value_kind:     by_value
      - .offset:         72
        .size:           1
        .value_kind:     by_value
      - .address_space:  global
        .offset:         80
        .size:           8
        .value_kind:     global_buffer
      - .offset:         88
        .size:           8
        .value_kind:     by_value
      - .offset:         96
        .size:           4
        .value_kind:     by_value
      - .offset:         100
        .size:           4
        .value_kind:     by_value
      - .offset:         104
        .size:           8
        .value_kind:     by_value
      - .offset:         112
        .size:           16
        .value_kind:     by_value
      - .address_space:  global
        .offset:         128
        .size:           8
        .value_kind:     global_buffer
      - .offset:         136
        .size:           8
        .value_kind:     by_value
      - .offset:         144
        .size:           4
        .value_kind:     by_value
      - .offset:         148
        .size:           4
        .value_kind:     by_value
      - .offset:         152
        .size:           8
        .value_kind:     by_value
      - .offset:         160
        .size:           4
        .value_kind:     hidden_block_count_x
      - .offset:         164
        .size:           4
        .value_kind:     hidden_block_count_y
      - .offset:         168
        .size:           4
        .value_kind:     hidden_block_count_z
      - .offset:         172
        .size:           2
        .value_kind:     hidden_group_size_x
      - .offset:         174
        .size:           2
        .value_kind:     hidden_group_size_y
      - .offset:         176
        .size:           2
        .value_kind:     hidden_group_size_z
      - .offset:         178
        .size:           2
        .value_kind:     hidden_remainder_x
      - .offset:         180
        .size:           2
        .value_kind:     hidden_remainder_y
      - .offset:         182
        .size:           2
        .value_kind:     hidden_remainder_z
      - .offset:         200
        .size:           8
        .value_kind:     hidden_global_offset_x
      - .offset:         208
        .size:           8
        .value_kind:     hidden_global_offset_y
      - .offset:         216
        .size:           8
        .value_kind:     hidden_global_offset_z
      - .offset:         224
        .size:           2
        .value_kind:     hidden_grid_dims
    .group_segment_fixed_size: 0
    .kernarg_segment_align: 8
    .kernarg_segment_size: 416
    .language:       OpenCL C
    .language_version:
      - 2
      - 0
    .max_flat_workgroup_size: 1024
    .name:           _ZN9rocsolver6v33100L11gemm_kernelI19rocblas_complex_numIdEiS3_PKPS3_S4_S4_EEvT0_S7_S7_T1_bT2_lS7_S7_lbT3_lS7_S7_lS8_T4_lS7_S7_l
    .private_segment_fixed_size: 0
    .sgpr_count:     31
    .sgpr_spill_count: 0
    .symbol:         _ZN9rocsolver6v33100L11gemm_kernelI19rocblas_complex_numIdEiS3_PKPS3_S4_S4_EEvT0_S7_S7_T1_bT2_lS7_S7_lbT3_lS7_S7_lS8_T4_lS7_S7_l.kd
    .uniform_work_group_size: 1
    .uses_dynamic_stack: false
    .vgpr_count:     20
    .vgpr_spill_count: 0
    .wavefront_size: 32
  - .args:
      - .offset:         0
        .size:           4
        .value_kind:     by_value
      - .offset:         4
        .size:           4
        .value_kind:     by_value
      - .offset:         8
        .size:           4
        .value_kind:     by_value
      - .offset:         12
        .size:           4
        .value_kind:     by_value
      - .offset:         16
        .size:           4
        .value_kind:     by_value
      - .address_space:  global
        .offset:         24
        .size:           8
        .value_kind:     global_buffer
      - .address_space:  global
        .offset:         32
        .size:           8
        .value_kind:     global_buffer
      - .offset:         40
        .size:           8
        .value_kind:     by_value
      - .offset:         48
        .size:           4
        .value_kind:     by_value
      - .offset:         52
        .size:           4
        .value_kind:     by_value
      - .offset:         56
        .size:           8
        .value_kind:     by_value
      - .address_space:  global
        .offset:         64
        .size:           8
        .value_kind:     global_buffer
      - .offset:         72
        .size:           8
        .value_kind:     by_value
      - .offset:         80
        .size:           4
        .value_kind:     by_value
      - .offset:         84
        .size:           4
        .value_kind:     by_value
      - .offset:         88
        .size:           8
        .value_kind:     by_value
      - .address_space:  global
        .offset:         96
        .size:           8
        .value_kind:     global_buffer
      - .address_space:  global
        .offset:         104
        .size:           8
        .value_kind:     global_buffer
      - .offset:         112
        .size:           8
        .value_kind:     by_value
      - .offset:         120
        .size:           4
        .value_kind:     by_value
      - .offset:         124
        .size:           4
        .value_kind:     by_value
      - .offset:         128
        .size:           8
        .value_kind:     by_value
    .group_segment_fixed_size: 0
    .kernarg_segment_align: 8
    .kernarg_segment_size: 136
    .language:       OpenCL C
    .language_version:
      - 2
      - 0
    .max_flat_workgroup_size: 1024
    .name:           _ZN9rocsolver6v33100L16mfma_gemm_kernelI19rocblas_complex_numIdEiPKS3_PS3_PKS6_S6_EEv18rocblas_operation_S9_T0_SA_SA_T1_T2_lSA_SA_lT3_lSA_SA_lSB_T4_lSA_SA_l
    .private_segment_fixed_size: 0
    .sgpr_count:     0
    .sgpr_spill_count: 0
    .symbol:         _ZN9rocsolver6v33100L16mfma_gemm_kernelI19rocblas_complex_numIdEiPKS3_PS3_PKS6_S6_EEv18rocblas_operation_S9_T0_SA_SA_T1_T2_lSA_SA_lT3_lSA_SA_lSB_T4_lSA_SA_l.kd
    .uniform_work_group_size: 1
    .uses_dynamic_stack: false
    .vgpr_count:     0
    .vgpr_spill_count: 0
    .wavefront_size: 32
  - .args:
      - .offset:         0
        .size:           4
        .value_kind:     by_value
      - .offset:         4
        .size:           4
        .value_kind:     by_value
      - .offset:         8
        .size:           4
        .value_kind:     by_value
      - .offset:         12
        .size:           4
        .value_kind:     by_value
      - .offset:         16
        .size:           4
        .value_kind:     by_value
      - .offset:         24
        .size:           16
        .value_kind:     by_value
      - .address_space:  global
        .offset:         40
        .size:           8
        .value_kind:     global_buffer
      - .offset:         48
        .size:           8
        .value_kind:     by_value
      - .offset:         56
        .size:           4
        .value_kind:     by_value
      - .offset:         60
        .size:           4
        .value_kind:     by_value
      - .offset:         64
        .size:           8
        .value_kind:     by_value
      - .address_space:  global
        .offset:         72
        .size:           8
        .value_kind:     global_buffer
      - .offset:         80
        .size:           8
        .value_kind:     by_value
      - .offset:         88
        .size:           4
        .value_kind:     by_value
      - .offset:         92
        .size:           4
        .value_kind:     by_value
      - .offset:         96
        .size:           8
        .value_kind:     by_value
      - .offset:         104
        .size:           16
        .value_kind:     by_value
      - .address_space:  global
        .offset:         120
        .size:           8
        .value_kind:     global_buffer
      - .offset:         128
        .size:           8
        .value_kind:     by_value
      - .offset:         136
        .size:           4
        .value_kind:     by_value
      - .offset:         140
        .size:           4
        .value_kind:     by_value
      - .offset:         144
        .size:           8
        .value_kind:     by_value
    .group_segment_fixed_size: 0
    .kernarg_segment_align: 8
    .kernarg_segment_size: 152
    .language:       OpenCL C
    .language_version:
      - 2
      - 0
    .max_flat_workgroup_size: 1024
    .name:           _ZN9rocsolver6v33100L16mfma_gemm_kernelI19rocblas_complex_numIdEiS3_PS3_PKS4_S4_EEv18rocblas_operation_S7_T0_S8_S8_T1_T2_lS8_S8_lT3_lS8_S8_lS9_T4_lS8_S8_l
    .private_segment_fixed_size: 0
    .sgpr_count:     0
    .sgpr_spill_count: 0
    .symbol:         _ZN9rocsolver6v33100L16mfma_gemm_kernelI19rocblas_complex_numIdEiS3_PS3_PKS4_S4_EEv18rocblas_operation_S7_T0_S8_S8_T1_T2_lS8_S8_lT3_lS8_S8_lS9_T4_lS8_S8_l.kd
    .uniform_work_group_size: 1
    .uses_dynamic_stack: false
    .vgpr_count:     0
    .vgpr_spill_count: 0
    .wavefront_size: 32
  - .args:
      - .offset:         0
        .size:           4
        .value_kind:     by_value
      - .offset:         4
        .size:           4
        .value_kind:     by_value
      - .offset:         8
        .size:           4
        .value_kind:     by_value
      - .address_space:  global
        .offset:         16
        .size:           8
        .value_kind:     global_buffer
      - .offset:         24
        .size:           1
        .value_kind:     by_value
      - .address_space:  global
        .offset:         32
        .size:           8
        .value_kind:     global_buffer
      - .offset:         40
        .size:           8
        .value_kind:     by_value
      - .offset:         48
        .size:           4
        .value_kind:     by_value
      - .offset:         52
        .size:           4
        .value_kind:     by_value
      - .offset:         56
        .size:           8
        .value_kind:     by_value
      - .offset:         64
        .size:           1
        .value_kind:     by_value
      - .address_space:  global
        .offset:         72
        .size:           8
        .value_kind:     global_buffer
      - .offset:         80
        .size:           8
        .value_kind:     by_value
      - .offset:         88
        .size:           4
        .value_kind:     by_value
      - .offset:         92
        .size:           4
        .value_kind:     by_value
      - .offset:         96
        .size:           8
        .value_kind:     by_value
      - .address_space:  global
        .offset:         104
        .size:           8
        .value_kind:     global_buffer
      - .address_space:  global
        .offset:         112
        .size:           8
        .value_kind:     global_buffer
      - .offset:         120
        .size:           8
        .value_kind:     by_value
      - .offset:         128
        .size:           4
        .value_kind:     by_value
      - .offset:         132
        .size:           4
        .value_kind:     by_value
      - .offset:         136
        .size:           8
        .value_kind:     by_value
      - .offset:         144
        .size:           4
        .value_kind:     hidden_block_count_x
      - .offset:         148
        .size:           4
        .value_kind:     hidden_block_count_y
      - .offset:         152
        .size:           4
        .value_kind:     hidden_block_count_z
      - .offset:         156
        .size:           2
        .value_kind:     hidden_group_size_x
      - .offset:         158
        .size:           2
        .value_kind:     hidden_group_size_y
      - .offset:         160
        .size:           2
        .value_kind:     hidden_group_size_z
      - .offset:         162
        .size:           2
        .value_kind:     hidden_remainder_x
      - .offset:         164
        .size:           2
        .value_kind:     hidden_remainder_y
      - .offset:         166
        .size:           2
        .value_kind:     hidden_remainder_z
      - .offset:         184
        .size:           8
        .value_kind:     hidden_global_offset_x
      - .offset:         192
        .size:           8
        .value_kind:     hidden_global_offset_y
      - .offset:         200
        .size:           8
        .value_kind:     hidden_global_offset_z
      - .offset:         208
        .size:           2
        .value_kind:     hidden_grid_dims
    .group_segment_fixed_size: 0
    .kernarg_segment_align: 8
    .kernarg_segment_size: 400
    .language:       OpenCL C
    .language_version:
      - 2
      - 0
    .max_flat_workgroup_size: 1024
    .name:           _ZN9rocsolver6v33100L11gemm_kernelI19rocblas_complex_numIdEiPKS3_PS3_PKS6_S6_EEvT0_S9_S9_T1_bT2_lS9_S9_lbT3_lS9_S9_lSA_T4_lS9_S9_l
    .private_segment_fixed_size: 0
    .sgpr_count:     32
    .sgpr_spill_count: 0
    .symbol:         _ZN9rocsolver6v33100L11gemm_kernelI19rocblas_complex_numIdEiPKS3_PS3_PKS6_S6_EEvT0_S9_S9_T1_bT2_lS9_S9_lbT3_lS9_S9_lSA_T4_lS9_S9_l.kd
    .uniform_work_group_size: 1
    .uses_dynamic_stack: false
    .vgpr_count:     20
    .vgpr_spill_count: 0
    .wavefront_size: 32
  - .args:
      - .offset:         0
        .size:           4
        .value_kind:     by_value
      - .offset:         4
        .size:           4
        .value_kind:     by_value
      - .offset:         8
        .size:           4
        .value_kind:     by_value
      - .offset:         16
        .size:           16
        .value_kind:     by_value
      - .offset:         32
        .size:           1
        .value_kind:     by_value
      - .address_space:  global
        .offset:         40
        .size:           8
        .value_kind:     global_buffer
      - .offset:         48
        .size:           8
        .value_kind:     by_value
      - .offset:         56
        .size:           4
        .value_kind:     by_value
      - .offset:         60
        .size:           4
        .value_kind:     by_value
      - .offset:         64
        .size:           8
        .value_kind:     by_value
      - .offset:         72
        .size:           1
        .value_kind:     by_value
      - .address_space:  global
        .offset:         80
        .size:           8
        .value_kind:     global_buffer
      - .offset:         88
        .size:           8
        .value_kind:     by_value
      - .offset:         96
        .size:           4
        .value_kind:     by_value
      - .offset:         100
        .size:           4
        .value_kind:     by_value
      - .offset:         104
        .size:           8
        .value_kind:     by_value
      - .offset:         112
        .size:           16
        .value_kind:     by_value
      - .address_space:  global
        .offset:         128
        .size:           8
        .value_kind:     global_buffer
      - .offset:         136
        .size:           8
        .value_kind:     by_value
      - .offset:         144
        .size:           4
        .value_kind:     by_value
      - .offset:         148
        .size:           4
        .value_kind:     by_value
      - .offset:         152
        .size:           8
        .value_kind:     by_value
      - .offset:         160
        .size:           4
        .value_kind:     hidden_block_count_x
      - .offset:         164
        .size:           4
        .value_kind:     hidden_block_count_y
      - .offset:         168
        .size:           4
        .value_kind:     hidden_block_count_z
      - .offset:         172
        .size:           2
        .value_kind:     hidden_group_size_x
      - .offset:         174
        .size:           2
        .value_kind:     hidden_group_size_y
      - .offset:         176
        .size:           2
        .value_kind:     hidden_group_size_z
      - .offset:         178
        .size:           2
        .value_kind:     hidden_remainder_x
      - .offset:         180
        .size:           2
        .value_kind:     hidden_remainder_y
      - .offset:         182
        .size:           2
        .value_kind:     hidden_remainder_z
      - .offset:         200
        .size:           8
        .value_kind:     hidden_global_offset_x
      - .offset:         208
        .size:           8
        .value_kind:     hidden_global_offset_y
      - .offset:         216
        .size:           8
        .value_kind:     hidden_global_offset_z
      - .offset:         224
        .size:           2
        .value_kind:     hidden_grid_dims
    .group_segment_fixed_size: 0
    .kernarg_segment_align: 8
    .kernarg_segment_size: 416
    .language:       OpenCL C
    .language_version:
      - 2
      - 0
    .max_flat_workgroup_size: 1024
    .name:           _ZN9rocsolver6v33100L11gemm_kernelI19rocblas_complex_numIdEiS3_PS3_PKS4_S4_EEvT0_S7_S7_T1_bT2_lS7_S7_lbT3_lS7_S7_lS8_T4_lS7_S7_l
    .private_segment_fixed_size: 0
    .sgpr_count:     26
    .sgpr_spill_count: 0
    .symbol:         _ZN9rocsolver6v33100L11gemm_kernelI19rocblas_complex_numIdEiS3_PS3_PKS4_S4_EEvT0_S7_S7_T1_bT2_lS7_S7_lbT3_lS7_S7_lS8_T4_lS7_S7_l.kd
    .uniform_work_group_size: 1
    .uses_dynamic_stack: false
    .vgpr_count:     20
    .vgpr_spill_count: 0
    .wavefront_size: 32
  - .args:
      - .offset:         0
        .size:           4
        .value_kind:     by_value
      - .offset:         4
        .size:           4
        .value_kind:     by_value
      - .offset:         8
        .size:           4
        .value_kind:     by_value
      - .offset:         12
        .size:           4
        .value_kind:     by_value
      - .offset:         16
        .size:           4
        .value_kind:     by_value
      - .address_space:  global
        .offset:         24
        .size:           8
        .value_kind:     global_buffer
      - .address_space:  global
        .offset:         32
        .size:           8
        .value_kind:     global_buffer
      - .offset:         40
        .size:           8
        .value_kind:     by_value
      - .offset:         48
        .size:           4
        .value_kind:     by_value
      - .offset:         52
        .size:           4
        .value_kind:     by_value
      - .offset:         56
        .size:           8
        .value_kind:     by_value
      - .address_space:  global
        .offset:         64
        .size:           8
        .value_kind:     global_buffer
      - .offset:         72
        .size:           8
        .value_kind:     by_value
      - .offset:         80
        .size:           4
        .value_kind:     by_value
      - .offset:         84
        .size:           4
        .value_kind:     by_value
      - .offset:         88
        .size:           8
        .value_kind:     by_value
      - .address_space:  global
        .offset:         96
        .size:           8
        .value_kind:     global_buffer
      - .address_space:  global
        .offset:         104
        .size:           8
        .value_kind:     global_buffer
      - .offset:         112
        .size:           8
        .value_kind:     by_value
      - .offset:         120
        .size:           4
        .value_kind:     by_value
      - .offset:         124
        .size:           4
        .value_kind:     by_value
      - .offset:         128
        .size:           8
        .value_kind:     by_value
    .group_segment_fixed_size: 0
    .kernarg_segment_align: 8
    .kernarg_segment_size: 136
    .language:       OpenCL C
    .language_version:
      - 2
      - 0
    .max_flat_workgroup_size: 1024
    .name:           _ZN9rocsolver6v33100L16mfma_gemm_kernelI19rocblas_complex_numIdEiPKS3_PS3_S6_PKS6_EEv18rocblas_operation_S9_T0_SA_SA_T1_T2_lSA_SA_lT3_lSA_SA_lSB_T4_lSA_SA_l
    .private_segment_fixed_size: 0
    .sgpr_count:     0
    .sgpr_spill_count: 0
    .symbol:         _ZN9rocsolver6v33100L16mfma_gemm_kernelI19rocblas_complex_numIdEiPKS3_PS3_S6_PKS6_EEv18rocblas_operation_S9_T0_SA_SA_T1_T2_lSA_SA_lT3_lSA_SA_lSB_T4_lSA_SA_l.kd
    .uniform_work_group_size: 1
    .uses_dynamic_stack: false
    .vgpr_count:     0
    .vgpr_spill_count: 0
    .wavefront_size: 32
  - .args:
      - .offset:         0
        .size:           4
        .value_kind:     by_value
      - .offset:         4
        .size:           4
        .value_kind:     by_value
      - .offset:         8
        .size:           4
        .value_kind:     by_value
      - .offset:         12
        .size:           4
        .value_kind:     by_value
      - .offset:         16
        .size:           4
        .value_kind:     by_value
      - .offset:         24
        .size:           16
        .value_kind:     by_value
      - .address_space:  global
        .offset:         40
        .size:           8
        .value_kind:     global_buffer
      - .offset:         48
        .size:           8
        .value_kind:     by_value
      - .offset:         56
        .size:           4
        .value_kind:     by_value
      - .offset:         60
        .size:           4
        .value_kind:     by_value
      - .offset:         64
        .size:           8
        .value_kind:     by_value
      - .address_space:  global
        .offset:         72
        .size:           8
        .value_kind:     global_buffer
      - .offset:         80
        .size:           8
        .value_kind:     by_value
      - .offset:         88
        .size:           4
        .value_kind:     by_value
      - .offset:         92
        .size:           4
        .value_kind:     by_value
      - .offset:         96
        .size:           8
        .value_kind:     by_value
      - .offset:         104
        .size:           16
        .value_kind:     by_value
      - .address_space:  global
        .offset:         120
        .size:           8
        .value_kind:     global_buffer
      - .offset:         128
        .size:           8
        .value_kind:     by_value
      - .offset:         136
        .size:           4
        .value_kind:     by_value
      - .offset:         140
        .size:           4
        .value_kind:     by_value
      - .offset:         144
        .size:           8
        .value_kind:     by_value
    .group_segment_fixed_size: 0
    .kernarg_segment_align: 8
    .kernarg_segment_size: 152
    .language:       OpenCL C
    .language_version:
      - 2
      - 0
    .max_flat_workgroup_size: 1024
    .name:           _ZN9rocsolver6v33100L16mfma_gemm_kernelI19rocblas_complex_numIdEiS3_PS3_S4_PKS4_EEv18rocblas_operation_S7_T0_S8_S8_T1_T2_lS8_S8_lT3_lS8_S8_lS9_T4_lS8_S8_l
    .private_segment_fixed_size: 0
    .sgpr_count:     0
    .sgpr_spill_count: 0
    .symbol:         _ZN9rocsolver6v33100L16mfma_gemm_kernelI19rocblas_complex_numIdEiS3_PS3_S4_PKS4_EEv18rocblas_operation_S7_T0_S8_S8_T1_T2_lS8_S8_lT3_lS8_S8_lS9_T4_lS8_S8_l.kd
    .uniform_work_group_size: 1
    .uses_dynamic_stack: false
    .vgpr_count:     0
    .vgpr_spill_count: 0
    .wavefront_size: 32
  - .args:
      - .offset:         0
        .size:           4
        .value_kind:     by_value
      - .offset:         4
        .size:           4
        .value_kind:     by_value
      - .offset:         8
        .size:           4
        .value_kind:     by_value
      - .address_space:  global
        .offset:         16
        .size:           8
        .value_kind:     global_buffer
      - .offset:         24
        .size:           1
        .value_kind:     by_value
      - .address_space:  global
        .offset:         32
        .size:           8
        .value_kind:     global_buffer
      - .offset:         40
        .size:           8
        .value_kind:     by_value
      - .offset:         48
        .size:           4
        .value_kind:     by_value
      - .offset:         52
        .size:           4
        .value_kind:     by_value
      - .offset:         56
        .size:           8
        .value_kind:     by_value
      - .offset:         64
        .size:           1
        .value_kind:     by_value
      - .address_space:  global
        .offset:         72
        .size:           8
        .value_kind:     global_buffer
      - .offset:         80
        .size:           8
        .value_kind:     by_value
      - .offset:         88
        .size:           4
        .value_kind:     by_value
      - .offset:         92
        .size:           4
        .value_kind:     by_value
      - .offset:         96
        .size:           8
        .value_kind:     by_value
      - .address_space:  global
        .offset:         104
        .size:           8
        .value_kind:     global_buffer
      - .address_space:  global
        .offset:         112
        .size:           8
        .value_kind:     global_buffer
      - .offset:         120
        .size:           8
        .value_kind:     by_value
      - .offset:         128
        .size:           4
        .value_kind:     by_value
      - .offset:         132
        .size:           4
        .value_kind:     by_value
      - .offset:         136
        .size:           8
        .value_kind:     by_value
      - .offset:         144
        .size:           4
        .value_kind:     hidden_block_count_x
      - .offset:         148
        .size:           4
        .value_kind:     hidden_block_count_y
      - .offset:         152
        .size:           4
        .value_kind:     hidden_block_count_z
      - .offset:         156
        .size:           2
        .value_kind:     hidden_group_size_x
      - .offset:         158
        .size:           2
        .value_kind:     hidden_group_size_y
      - .offset:         160
        .size:           2
        .value_kind:     hidden_group_size_z
      - .offset:         162
        .size:           2
        .value_kind:     hidden_remainder_x
      - .offset:         164
        .size:           2
        .value_kind:     hidden_remainder_y
      - .offset:         166
        .size:           2
        .value_kind:     hidden_remainder_z
      - .offset:         184
        .size:           8
        .value_kind:     hidden_global_offset_x
      - .offset:         192
        .size:           8
        .value_kind:     hidden_global_offset_y
      - .offset:         200
        .size:           8
        .value_kind:     hidden_global_offset_z
      - .offset:         208
        .size:           2
        .value_kind:     hidden_grid_dims
    .group_segment_fixed_size: 0
    .kernarg_segment_align: 8
    .kernarg_segment_size: 400
    .language:       OpenCL C
    .language_version:
      - 2
      - 0
    .max_flat_workgroup_size: 1024
    .name:           _ZN9rocsolver6v33100L11gemm_kernelI19rocblas_complex_numIdEiPKS3_PS3_S6_PKS6_EEvT0_S9_S9_T1_bT2_lS9_S9_lbT3_lS9_S9_lSA_T4_lS9_S9_l
    .private_segment_fixed_size: 0
    .sgpr_count:     34
    .sgpr_spill_count: 0
    .symbol:         _ZN9rocsolver6v33100L11gemm_kernelI19rocblas_complex_numIdEiPKS3_PS3_S6_PKS6_EEvT0_S9_S9_T1_bT2_lS9_S9_lbT3_lS9_S9_lSA_T4_lS9_S9_l.kd
    .uniform_work_group_size: 1
    .uses_dynamic_stack: false
    .vgpr_count:     20
    .vgpr_spill_count: 0
    .wavefront_size: 32
  - .args:
      - .offset:         0
        .size:           4
        .value_kind:     by_value
      - .offset:         4
        .size:           4
        .value_kind:     by_value
      - .offset:         8
        .size:           4
        .value_kind:     by_value
      - .offset:         16
        .size:           16
        .value_kind:     by_value
      - .offset:         32
        .size:           1
        .value_kind:     by_value
      - .address_space:  global
        .offset:         40
        .size:           8
        .value_kind:     global_buffer
      - .offset:         48
        .size:           8
        .value_kind:     by_value
      - .offset:         56
        .size:           4
        .value_kind:     by_value
      - .offset:         60
        .size:           4
        .value_kind:     by_value
      - .offset:         64
        .size:           8
        .value_kind:     by_value
      - .offset:         72
        .size:           1
        .value_kind:     by_value
      - .address_space:  global
        .offset:         80
        .size:           8
        .value_kind:     global_buffer
      - .offset:         88
        .size:           8
        .value_kind:     by_value
      - .offset:         96
        .size:           4
        .value_kind:     by_value
      - .offset:         100
        .size:           4
        .value_kind:     by_value
      - .offset:         104
        .size:           8
        .value_kind:     by_value
      - .offset:         112
        .size:           16
        .value_kind:     by_value
      - .address_space:  global
        .offset:         128
        .size:           8
        .value_kind:     global_buffer
      - .offset:         136
        .size:           8
        .value_kind:     by_value
      - .offset:         144
        .size:           4
        .value_kind:     by_value
      - .offset:         148
        .size:           4
        .value_kind:     by_value
      - .offset:         152
        .size:           8
        .value_kind:     by_value
      - .offset:         160
        .size:           4
        .value_kind:     hidden_block_count_x
      - .offset:         164
        .size:           4
        .value_kind:     hidden_block_count_y
      - .offset:         168
        .size:           4
        .value_kind:     hidden_block_count_z
      - .offset:         172
        .size:           2
        .value_kind:     hidden_group_size_x
      - .offset:         174
        .size:           2
        .value_kind:     hidden_group_size_y
      - .offset:         176
        .size:           2
        .value_kind:     hidden_group_size_z
      - .offset:         178
        .size:           2
        .value_kind:     hidden_remainder_x
      - .offset:         180
        .size:           2
        .value_kind:     hidden_remainder_y
      - .offset:         182
        .size:           2
        .value_kind:     hidden_remainder_z
      - .offset:         200
        .size:           8
        .value_kind:     hidden_global_offset_x
      - .offset:         208
        .size:           8
        .value_kind:     hidden_global_offset_y
      - .offset:         216
        .size:           8
        .value_kind:     hidden_global_offset_z
      - .offset:         224
        .size:           2
        .value_kind:     hidden_grid_dims
    .group_segment_fixed_size: 0
    .kernarg_segment_align: 8
    .kernarg_segment_size: 416
    .language:       OpenCL C
    .language_version:
      - 2
      - 0
    .max_flat_workgroup_size: 1024
    .name:           _ZN9rocsolver6v33100L11gemm_kernelI19rocblas_complex_numIdEiS3_PS3_S4_PKS4_EEvT0_S7_S7_T1_bT2_lS7_S7_lbT3_lS7_S7_lS8_T4_lS7_S7_l
    .private_segment_fixed_size: 0
    .sgpr_count:     34
    .sgpr_spill_count: 0
    .symbol:         _ZN9rocsolver6v33100L11gemm_kernelI19rocblas_complex_numIdEiS3_PS3_S4_PKS4_EEvT0_S7_S7_T1_bT2_lS7_S7_lbT3_lS7_S7_lS8_T4_lS7_S7_l.kd
    .uniform_work_group_size: 1
    .uses_dynamic_stack: false
    .vgpr_count:     20
    .vgpr_spill_count: 0
    .wavefront_size: 32
  - .args:
      - .offset:         0
        .size:           4
        .value_kind:     by_value
      - .offset:         4
        .size:           4
        .value_kind:     by_value
      - .offset:         8
        .size:           8
        .value_kind:     by_value
      - .offset:         16
        .size:           8
        .value_kind:     by_value
      - .offset:         24
        .size:           8
        .value_kind:     by_value
      - .address_space:  global
        .offset:         32
        .size:           8
        .value_kind:     global_buffer
      - .address_space:  global
        .offset:         40
        .size:           8
        .value_kind:     global_buffer
      - .offset:         48
        .size:           8
        .value_kind:     by_value
      - .offset:         56
        .size:           8
        .value_kind:     by_value
      - .offset:         64
        .size:           8
        .value_kind:     by_value
      - .offset:         72
        .size:           8
        .value_kind:     by_value
      - .address_space:  global
        .offset:         80
        .size:           8
        .value_kind:     global_buffer
      - .offset:         88
        .size:           8
        .value_kind:     by_value
      - .offset:         96
        .size:           8
        .value_kind:     by_value
      - .offset:         104
        .size:           8
        .value_kind:     by_value
      - .offset:         112
        .size:           8
        .value_kind:     by_value
      - .address_space:  global
        .offset:         120
        .size:           8
        .value_kind:     global_buffer
      - .address_space:  global
        .offset:         128
        .size:           8
        .value_kind:     global_buffer
      - .offset:         136
        .size:           8
        .value_kind:     by_value
      - .offset:         144
        .size:           8
        .value_kind:     by_value
      - .offset:         152
        .size:           8
        .value_kind:     by_value
      - .offset:         160
        .size:           8
        .value_kind:     by_value
    .group_segment_fixed_size: 0
    .kernarg_segment_align: 8
    .kernarg_segment_size: 168
    .language:       OpenCL C
    .language_version:
      - 2
      - 0
    .max_flat_workgroup_size: 1024
    .name:           _ZN9rocsolver6v33100L16mfma_gemm_kernelI19rocblas_complex_numIdElPKS3_PS3_S6_S6_EEv18rocblas_operation_S7_T0_S8_S8_T1_T2_lS8_S8_lT3_lS8_S8_lS9_T4_lS8_S8_l
    .private_segment_fixed_size: 0
    .sgpr_count:     0
    .sgpr_spill_count: 0
    .symbol:         _ZN9rocsolver6v33100L16mfma_gemm_kernelI19rocblas_complex_numIdElPKS3_PS3_S6_S6_EEv18rocblas_operation_S7_T0_S8_S8_T1_T2_lS8_S8_lT3_lS8_S8_lS9_T4_lS8_S8_l.kd
    .uniform_work_group_size: 1
    .uses_dynamic_stack: false
    .vgpr_count:     0
    .vgpr_spill_count: 0
    .wavefront_size: 32
  - .args:
      - .offset:         0
        .size:           4
        .value_kind:     by_value
      - .offset:         4
        .size:           4
        .value_kind:     by_value
      - .offset:         8
        .size:           8
        .value_kind:     by_value
      - .offset:         16
        .size:           8
        .value_kind:     by_value
      - .offset:         24
        .size:           8
        .value_kind:     by_value
      - .offset:         32
        .size:           16
        .value_kind:     by_value
      - .address_space:  global
        .offset:         48
        .size:           8
        .value_kind:     global_buffer
      - .offset:         56
        .size:           8
        .value_kind:     by_value
      - .offset:         64
        .size:           8
        .value_kind:     by_value
      - .offset:         72
        .size:           8
        .value_kind:     by_value
      - .offset:         80
        .size:           8
        .value_kind:     by_value
      - .address_space:  global
        .offset:         88
        .size:           8
        .value_kind:     global_buffer
      - .offset:         96
        .size:           8
        .value_kind:     by_value
      - .offset:         104
        .size:           8
        .value_kind:     by_value
      - .offset:         112
        .size:           8
        .value_kind:     by_value
      - .offset:         120
        .size:           8
        .value_kind:     by_value
      - .offset:         128
        .size:           16
        .value_kind:     by_value
      - .address_space:  global
        .offset:         144
        .size:           8
        .value_kind:     global_buffer
      - .offset:         152
        .size:           8
        .value_kind:     by_value
      - .offset:         160
        .size:           8
        .value_kind:     by_value
      - .offset:         168
        .size:           8
        .value_kind:     by_value
      - .offset:         176
        .size:           8
        .value_kind:     by_value
    .group_segment_fixed_size: 0
    .kernarg_segment_align: 8
    .kernarg_segment_size: 184
    .language:       OpenCL C
    .language_version:
      - 2
      - 0
    .max_flat_workgroup_size: 1024
    .name:           _ZN9rocsolver6v33100L16mfma_gemm_kernelI19rocblas_complex_numIdElS3_PS3_S4_S4_EEv18rocblas_operation_S5_T0_S6_S6_T1_T2_lS6_S6_lT3_lS6_S6_lS7_T4_lS6_S6_l
    .private_segment_fixed_size: 0
    .sgpr_count:     0
    .sgpr_spill_count: 0
    .symbol:         _ZN9rocsolver6v33100L16mfma_gemm_kernelI19rocblas_complex_numIdElS3_PS3_S4_S4_EEv18rocblas_operation_S5_T0_S6_S6_T1_T2_lS6_S6_lT3_lS6_S6_lS7_T4_lS6_S6_l.kd
    .uniform_work_group_size: 1
    .uses_dynamic_stack: false
    .vgpr_count:     0
    .vgpr_spill_count: 0
    .wavefront_size: 32
  - .args:
      - .offset:         0
        .size:           8
        .value_kind:     by_value
      - .offset:         8
        .size:           8
        .value_kind:     by_value
      - .offset:         16
        .size:           8
        .value_kind:     by_value
      - .address_space:  global
        .offset:         24
        .size:           8
        .value_kind:     global_buffer
      - .offset:         32
        .size:           1
        .value_kind:     by_value
      - .address_space:  global
        .offset:         40
        .size:           8
        .value_kind:     global_buffer
      - .offset:         48
        .size:           8
        .value_kind:     by_value
      - .offset:         56
        .size:           8
        .value_kind:     by_value
      - .offset:         64
        .size:           8
        .value_kind:     by_value
      - .offset:         72
        .size:           8
        .value_kind:     by_value
      - .offset:         80
        .size:           1
        .value_kind:     by_value
      - .address_space:  global
        .offset:         88
        .size:           8
        .value_kind:     global_buffer
      - .offset:         96
        .size:           8
        .value_kind:     by_value
      - .offset:         104
        .size:           8
        .value_kind:     by_value
      - .offset:         112
        .size:           8
        .value_kind:     by_value
      - .offset:         120
        .size:           8
        .value_kind:     by_value
      - .address_space:  global
        .offset:         128
        .size:           8
        .value_kind:     global_buffer
      - .address_space:  global
        .offset:         136
        .size:           8
        .value_kind:     global_buffer
      - .offset:         144
        .size:           8
        .value_kind:     by_value
      - .offset:         152
        .size:           8
        .value_kind:     by_value
      - .offset:         160
        .size:           8
        .value_kind:     by_value
      - .offset:         168
        .size:           8
        .value_kind:     by_value
      - .offset:         176
        .size:           4
        .value_kind:     hidden_block_count_x
      - .offset:         180
        .size:           4
        .value_kind:     hidden_block_count_y
      - .offset:         184
        .size:           4
        .value_kind:     hidden_block_count_z
      - .offset:         188
        .size:           2
        .value_kind:     hidden_group_size_x
      - .offset:         190
        .size:           2
        .value_kind:     hidden_group_size_y
      - .offset:         192
        .size:           2
        .value_kind:     hidden_group_size_z
      - .offset:         194
        .size:           2
        .value_kind:     hidden_remainder_x
      - .offset:         196
        .size:           2
        .value_kind:     hidden_remainder_y
      - .offset:         198
        .size:           2
        .value_kind:     hidden_remainder_z
      - .offset:         216
        .size:           8
        .value_kind:     hidden_global_offset_x
      - .offset:         224
        .size:           8
        .value_kind:     hidden_global_offset_y
      - .offset:         232
        .size:           8
        .value_kind:     hidden_global_offset_z
      - .offset:         240
        .size:           2
        .value_kind:     hidden_grid_dims
    .group_segment_fixed_size: 0
    .kernarg_segment_align: 8
    .kernarg_segment_size: 432
    .language:       OpenCL C
    .language_version:
      - 2
      - 0
    .max_flat_workgroup_size: 1024
    .name:           _ZN9rocsolver6v33100L11gemm_kernelI19rocblas_complex_numIdElPKS3_PS3_S6_S6_EEvT0_S7_S7_T1_bT2_lS7_S7_lbT3_lS7_S7_lS8_T4_lS7_S7_l
    .private_segment_fixed_size: 0
    .sgpr_count:     41
    .sgpr_spill_count: 0
    .symbol:         _ZN9rocsolver6v33100L11gemm_kernelI19rocblas_complex_numIdElPKS3_PS3_S6_S6_EEvT0_S7_S7_T1_bT2_lS7_S7_lbT3_lS7_S7_lS8_T4_lS7_S7_l.kd
    .uniform_work_group_size: 1
    .uses_dynamic_stack: false
    .vgpr_count:     22
    .vgpr_spill_count: 0
    .wavefront_size: 32
  - .args:
      - .offset:         0
        .size:           8
        .value_kind:     by_value
      - .offset:         8
        .size:           8
        .value_kind:     by_value
      - .offset:         16
        .size:           8
        .value_kind:     by_value
      - .offset:         24
        .size:           16
        .value_kind:     by_value
      - .offset:         40
        .size:           1
        .value_kind:     by_value
      - .address_space:  global
        .offset:         48
        .size:           8
        .value_kind:     global_buffer
      - .offset:         56
        .size:           8
        .value_kind:     by_value
      - .offset:         64
        .size:           8
        .value_kind:     by_value
      - .offset:         72
        .size:           8
        .value_kind:     by_value
      - .offset:         80
        .size:           8
        .value_kind:     by_value
      - .offset:         88
        .size:           1
        .value_kind:     by_value
      - .address_space:  global
        .offset:         96
        .size:           8
        .value_kind:     global_buffer
      - .offset:         104
        .size:           8
        .value_kind:     by_value
      - .offset:         112
        .size:           8
        .value_kind:     by_value
      - .offset:         120
        .size:           8
        .value_kind:     by_value
      - .offset:         128
        .size:           8
        .value_kind:     by_value
      - .offset:         136
        .size:           16
        .value_kind:     by_value
      - .address_space:  global
        .offset:         152
        .size:           8
        .value_kind:     global_buffer
      - .offset:         160
        .size:           8
        .value_kind:     by_value
      - .offset:         168
        .size:           8
        .value_kind:     by_value
      - .offset:         176
        .size:           8
        .value_kind:     by_value
      - .offset:         184
        .size:           8
        .value_kind:     by_value
      - .offset:         192
        .size:           4
        .value_kind:     hidden_block_count_x
      - .offset:         196
        .size:           4
        .value_kind:     hidden_block_count_y
      - .offset:         200
        .size:           4
        .value_kind:     hidden_block_count_z
      - .offset:         204
        .size:           2
        .value_kind:     hidden_group_size_x
      - .offset:         206
        .size:           2
        .value_kind:     hidden_group_size_y
      - .offset:         208
        .size:           2
        .value_kind:     hidden_group_size_z
      - .offset:         210
        .size:           2
        .value_kind:     hidden_remainder_x
      - .offset:         212
        .size:           2
        .value_kind:     hidden_remainder_y
      - .offset:         214
        .size:           2
        .value_kind:     hidden_remainder_z
      - .offset:         232
        .size:           8
        .value_kind:     hidden_global_offset_x
      - .offset:         240
        .size:           8
        .value_kind:     hidden_global_offset_y
      - .offset:         248
        .size:           8
        .value_kind:     hidden_global_offset_z
      - .offset:         256
        .size:           2
        .value_kind:     hidden_grid_dims
    .group_segment_fixed_size: 0
    .kernarg_segment_align: 8
    .kernarg_segment_size: 448
    .language:       OpenCL C
    .language_version:
      - 2
      - 0
    .max_flat_workgroup_size: 1024
    .name:           _ZN9rocsolver6v33100L11gemm_kernelI19rocblas_complex_numIdElS3_PS3_S4_S4_EEvT0_S5_S5_T1_bT2_lS5_S5_lbT3_lS5_S5_lS6_T4_lS5_S5_l
    .private_segment_fixed_size: 0
    .sgpr_count:     45
    .sgpr_spill_count: 0
    .symbol:         _ZN9rocsolver6v33100L11gemm_kernelI19rocblas_complex_numIdElS3_PS3_S4_S4_EEvT0_S5_S5_T1_bT2_lS5_S5_lbT3_lS5_S5_lS6_T4_lS5_S5_l.kd
    .uniform_work_group_size: 1
    .uses_dynamic_stack: false
    .vgpr_count:     22
    .vgpr_spill_count: 0
    .wavefront_size: 32
  - .args:
      - .offset:         0
        .size:           4
        .value_kind:     by_value
      - .offset:         4
        .size:           4
        .value_kind:     by_value
      - .offset:         8
        .size:           8
        .value_kind:     by_value
      - .offset:         16
        .size:           8
        .value_kind:     by_value
      - .offset:         24
        .size:           8
        .value_kind:     by_value
      - .address_space:  global
        .offset:         32
        .size:           8
        .value_kind:     global_buffer
      - .address_space:  global
        .offset:         40
        .size:           8
        .value_kind:     global_buffer
      - .offset:         48
        .size:           8
        .value_kind:     by_value
      - .offset:         56
        .size:           8
        .value_kind:     by_value
      - .offset:         64
        .size:           8
        .value_kind:     by_value
      - .offset:         72
        .size:           8
        .value_kind:     by_value
      - .address_space:  global
        .offset:         80
        .size:           8
        .value_kind:     global_buffer
      - .offset:         88
        .size:           8
        .value_kind:     by_value
      - .offset:         96
        .size:           8
        .value_kind:     by_value
      - .offset:         104
        .size:           8
        .value_kind:     by_value
      - .offset:         112
        .size:           8
        .value_kind:     by_value
      - .address_space:  global
        .offset:         120
        .size:           8
        .value_kind:     global_buffer
      - .address_space:  global
        .offset:         128
        .size:           8
        .value_kind:     global_buffer
      - .offset:         136
        .size:           8
        .value_kind:     by_value
      - .offset:         144
        .size:           8
        .value_kind:     by_value
      - .offset:         152
        .size:           8
        .value_kind:     by_value
      - .offset:         160
        .size:           8
        .value_kind:     by_value
    .group_segment_fixed_size: 0
    .kernarg_segment_align: 8
    .kernarg_segment_size: 168
    .language:       OpenCL C
    .language_version:
      - 2
      - 0
    .max_flat_workgroup_size: 1024
    .name:           _ZN9rocsolver6v33100L16mfma_gemm_kernelI19rocblas_complex_numIdElPKS3_PKPS3_S8_S8_EEv18rocblas_operation_S9_T0_SA_SA_T1_T2_lSA_SA_lT3_lSA_SA_lSB_T4_lSA_SA_l
    .private_segment_fixed_size: 0
    .sgpr_count:     0
    .sgpr_spill_count: 0
    .symbol:         _ZN9rocsolver6v33100L16mfma_gemm_kernelI19rocblas_complex_numIdElPKS3_PKPS3_S8_S8_EEv18rocblas_operation_S9_T0_SA_SA_T1_T2_lSA_SA_lT3_lSA_SA_lSB_T4_lSA_SA_l.kd
    .uniform_work_group_size: 1
    .uses_dynamic_stack: false
    .vgpr_count:     0
    .vgpr_spill_count: 0
    .wavefront_size: 32
  - .args:
      - .offset:         0
        .size:           4
        .value_kind:     by_value
      - .offset:         4
        .size:           4
        .value_kind:     by_value
      - .offset:         8
        .size:           8
        .value_kind:     by_value
      - .offset:         16
        .size:           8
        .value_kind:     by_value
      - .offset:         24
        .size:           8
        .value_kind:     by_value
      - .offset:         32
        .size:           16
        .value_kind:     by_value
      - .address_space:  global
        .offset:         48
        .size:           8
        .value_kind:     global_buffer
      - .offset:         56
        .size:           8
        .value_kind:     by_value
      - .offset:         64
        .size:           8
        .value_kind:     by_value
      - .offset:         72
        .size:           8
        .value_kind:     by_value
      - .offset:         80
        .size:           8
        .value_kind:     by_value
      - .address_space:  global
        .offset:         88
        .size:           8
        .value_kind:     global_buffer
      - .offset:         96
        .size:           8
        .value_kind:     by_value
      - .offset:         104
        .size:           8
        .value_kind:     by_value
      - .offset:         112
        .size:           8
        .value_kind:     by_value
      - .offset:         120
        .size:           8
        .value_kind:     by_value
      - .offset:         128
        .size:           16
        .value_kind:     by_value
      - .address_space:  global
        .offset:         144
        .size:           8
        .value_kind:     global_buffer
      - .offset:         152
        .size:           8
        .value_kind:     by_value
      - .offset:         160
        .size:           8
        .value_kind:     by_value
      - .offset:         168
        .size:           8
        .value_kind:     by_value
      - .offset:         176
        .size:           8
        .value_kind:     by_value
    .group_segment_fixed_size: 0
    .kernarg_segment_align: 8
    .kernarg_segment_size: 184
    .language:       OpenCL C
    .language_version:
      - 2
      - 0
    .max_flat_workgroup_size: 1024
    .name:           _ZN9rocsolver6v33100L16mfma_gemm_kernelI19rocblas_complex_numIdElS3_PKPS3_S6_S6_EEv18rocblas_operation_S7_T0_S8_S8_T1_T2_lS8_S8_lT3_lS8_S8_lS9_T4_lS8_S8_l
    .private_segment_fixed_size: 0
    .sgpr_count:     0
    .sgpr_spill_count: 0
    .symbol:         _ZN9rocsolver6v33100L16mfma_gemm_kernelI19rocblas_complex_numIdElS3_PKPS3_S6_S6_EEv18rocblas_operation_S7_T0_S8_S8_T1_T2_lS8_S8_lT3_lS8_S8_lS9_T4_lS8_S8_l.kd
    .uniform_work_group_size: 1
    .uses_dynamic_stack: false
    .vgpr_count:     0
    .vgpr_spill_count: 0
    .wavefront_size: 32
  - .args:
      - .offset:         0
        .size:           8
        .value_kind:     by_value
      - .offset:         8
        .size:           8
        .value_kind:     by_value
      - .offset:         16
        .size:           8
        .value_kind:     by_value
      - .address_space:  global
        .offset:         24
        .size:           8
        .value_kind:     global_buffer
      - .offset:         32
        .size:           1
        .value_kind:     by_value
      - .address_space:  global
        .offset:         40
        .size:           8
        .value_kind:     global_buffer
      - .offset:         48
        .size:           8
        .value_kind:     by_value
      - .offset:         56
        .size:           8
        .value_kind:     by_value
      - .offset:         64
        .size:           8
        .value_kind:     by_value
      - .offset:         72
        .size:           8
        .value_kind:     by_value
      - .offset:         80
        .size:           1
        .value_kind:     by_value
      - .address_space:  global
        .offset:         88
        .size:           8
        .value_kind:     global_buffer
      - .offset:         96
        .size:           8
        .value_kind:     by_value
      - .offset:         104
        .size:           8
        .value_kind:     by_value
      - .offset:         112
        .size:           8
        .value_kind:     by_value
      - .offset:         120
        .size:           8
        .value_kind:     by_value
      - .address_space:  global
        .offset:         128
        .size:           8
        .value_kind:     global_buffer
      - .address_space:  global
        .offset:         136
        .size:           8
        .value_kind:     global_buffer
      - .offset:         144
        .size:           8
        .value_kind:     by_value
      - .offset:         152
        .size:           8
        .value_kind:     by_value
      - .offset:         160
        .size:           8
        .value_kind:     by_value
      - .offset:         168
        .size:           8
        .value_kind:     by_value
      - .offset:         176
        .size:           4
        .value_kind:     hidden_block_count_x
      - .offset:         180
        .size:           4
        .value_kind:     hidden_block_count_y
      - .offset:         184
        .size:           4
        .value_kind:     hidden_block_count_z
      - .offset:         188
        .size:           2
        .value_kind:     hidden_group_size_x
      - .offset:         190
        .size:           2
        .value_kind:     hidden_group_size_y
      - .offset:         192
        .size:           2
        .value_kind:     hidden_group_size_z
      - .offset:         194
        .size:           2
        .value_kind:     hidden_remainder_x
      - .offset:         196
        .size:           2
        .value_kind:     hidden_remainder_y
      - .offset:         198
        .size:           2
        .value_kind:     hidden_remainder_z
      - .offset:         216
        .size:           8
        .value_kind:     hidden_global_offset_x
      - .offset:         224
        .size:           8
        .value_kind:     hidden_global_offset_y
      - .offset:         232
        .size:           8
        .value_kind:     hidden_global_offset_z
      - .offset:         240
        .size:           2
        .value_kind:     hidden_grid_dims
    .group_segment_fixed_size: 0
    .kernarg_segment_align: 8
    .kernarg_segment_size: 432
    .language:       OpenCL C
    .language_version:
      - 2
      - 0
    .max_flat_workgroup_size: 1024
    .name:           _ZN9rocsolver6v33100L11gemm_kernelI19rocblas_complex_numIdElPKS3_PKPS3_S8_S8_EEvT0_S9_S9_T1_bT2_lS9_S9_lbT3_lS9_S9_lSA_T4_lS9_S9_l
    .private_segment_fixed_size: 0
    .sgpr_count:     46
    .sgpr_spill_count: 0
    .symbol:         _ZN9rocsolver6v33100L11gemm_kernelI19rocblas_complex_numIdElPKS3_PKPS3_S8_S8_EEvT0_S9_S9_T1_bT2_lS9_S9_lbT3_lS9_S9_lSA_T4_lS9_S9_l.kd
    .uniform_work_group_size: 1
    .uses_dynamic_stack: false
    .vgpr_count:     22
    .vgpr_spill_count: 0
    .wavefront_size: 32
  - .args:
      - .offset:         0
        .size:           8
        .value_kind:     by_value
      - .offset:         8
        .size:           8
        .value_kind:     by_value
      - .offset:         16
        .size:           8
        .value_kind:     by_value
      - .offset:         24
        .size:           16
        .value_kind:     by_value
      - .offset:         40
        .size:           1
        .value_kind:     by_value
      - .address_space:  global
        .offset:         48
        .size:           8
        .value_kind:     global_buffer
      - .offset:         56
        .size:           8
        .value_kind:     by_value
      - .offset:         64
        .size:           8
        .value_kind:     by_value
      - .offset:         72
        .size:           8
        .value_kind:     by_value
      - .offset:         80
        .size:           8
        .value_kind:     by_value
      - .offset:         88
        .size:           1
        .value_kind:     by_value
      - .address_space:  global
        .offset:         96
        .size:           8
        .value_kind:     global_buffer
      - .offset:         104
        .size:           8
        .value_kind:     by_value
      - .offset:         112
        .size:           8
        .value_kind:     by_value
      - .offset:         120
        .size:           8
        .value_kind:     by_value
      - .offset:         128
        .size:           8
        .value_kind:     by_value
      - .offset:         136
        .size:           16
        .value_kind:     by_value
      - .address_space:  global
        .offset:         152
        .size:           8
        .value_kind:     global_buffer
      - .offset:         160
        .size:           8
        .value_kind:     by_value
      - .offset:         168
        .size:           8
        .value_kind:     by_value
      - .offset:         176
        .size:           8
        .value_kind:     by_value
      - .offset:         184
        .size:           8
        .value_kind:     by_value
      - .offset:         192
        .size:           4
        .value_kind:     hidden_block_count_x
      - .offset:         196
        .size:           4
        .value_kind:     hidden_block_count_y
      - .offset:         200
        .size:           4
        .value_kind:     hidden_block_count_z
      - .offset:         204
        .size:           2
        .value_kind:     hidden_group_size_x
      - .offset:         206
        .size:           2
        .value_kind:     hidden_group_size_y
      - .offset:         208
        .size:           2
        .value_kind:     hidden_group_size_z
      - .offset:         210
        .size:           2
        .value_kind:     hidden_remainder_x
      - .offset:         212
        .size:           2
        .value_kind:     hidden_remainder_y
      - .offset:         214
        .size:           2
        .value_kind:     hidden_remainder_z
      - .offset:         232
        .size:           8
        .value_kind:     hidden_global_offset_x
      - .offset:         240
        .size:           8
        .value_kind:     hidden_global_offset_y
      - .offset:         248
        .size:           8
        .value_kind:     hidden_global_offset_z
      - .offset:         256
        .size:           2
        .value_kind:     hidden_grid_dims
    .group_segment_fixed_size: 0
    .kernarg_segment_align: 8
    .kernarg_segment_size: 448
    .language:       OpenCL C
    .language_version:
      - 2
      - 0
    .max_flat_workgroup_size: 1024
    .name:           _ZN9rocsolver6v33100L11gemm_kernelI19rocblas_complex_numIdElS3_PKPS3_S6_S6_EEvT0_S7_S7_T1_bT2_lS7_S7_lbT3_lS7_S7_lS8_T4_lS7_S7_l
    .private_segment_fixed_size: 0
    .sgpr_count:     46
    .sgpr_spill_count: 0
    .symbol:         _ZN9rocsolver6v33100L11gemm_kernelI19rocblas_complex_numIdElS3_PKPS3_S6_S6_EEvT0_S7_S7_T1_bT2_lS7_S7_lbT3_lS7_S7_lS8_T4_lS7_S7_l.kd
    .uniform_work_group_size: 1
    .uses_dynamic_stack: false
    .vgpr_count:     22
    .vgpr_spill_count: 0
    .wavefront_size: 32
  - .args:
      - .address_space:  global
        .offset:         0
        .size:           8
        .value_kind:     global_buffer
      - .address_space:  global
        .offset:         8
        .size:           8
        .value_kind:     global_buffer
      - .offset:         16
        .size:           8
        .value_kind:     by_value
      - .offset:         24
        .size:           8
        .value_kind:     by_value
      - .offset:         32
        .size:           4
        .value_kind:     hidden_block_count_x
      - .offset:         36
        .size:           4
        .value_kind:     hidden_block_count_y
      - .offset:         40
        .size:           4
        .value_kind:     hidden_block_count_z
      - .offset:         44
        .size:           2
        .value_kind:     hidden_group_size_x
      - .offset:         46
        .size:           2
        .value_kind:     hidden_group_size_y
      - .offset:         48
        .size:           2
        .value_kind:     hidden_group_size_z
      - .offset:         50
        .size:           2
        .value_kind:     hidden_remainder_x
      - .offset:         52
        .size:           2
        .value_kind:     hidden_remainder_y
      - .offset:         54
        .size:           2
        .value_kind:     hidden_remainder_z
      - .offset:         72
        .size:           8
        .value_kind:     hidden_global_offset_x
      - .offset:         80
        .size:           8
        .value_kind:     hidden_global_offset_y
      - .offset:         88
        .size:           8
        .value_kind:     hidden_global_offset_z
      - .offset:         96
        .size:           2
        .value_kind:     hidden_grid_dims
    .group_segment_fixed_size: 0
    .kernarg_segment_align: 8
    .kernarg_segment_size: 288
    .language:       OpenCL C
    .language_version:
      - 2
      - 0
    .max_flat_workgroup_size: 1024
    .name:           _ZN9rocsolver6v33100L9get_arrayI19rocblas_complex_numIdElEEvPPT_S5_lT0_
    .private_segment_fixed_size: 0
    .sgpr_count:     13
    .sgpr_spill_count: 0
    .symbol:         _ZN9rocsolver6v33100L9get_arrayI19rocblas_complex_numIdElEEvPPT_S5_lT0_.kd
    .uniform_work_group_size: 1
    .uses_dynamic_stack: false
    .vgpr_count:     4
    .vgpr_spill_count: 0
    .wavefront_size: 32
  - .args:
      - .offset:         0
        .size:           4
        .value_kind:     by_value
      - .offset:         4
        .size:           4
        .value_kind:     by_value
      - .offset:         8
        .size:           8
        .value_kind:     by_value
      - .offset:         16
        .size:           8
        .value_kind:     by_value
      - .offset:         24
        .size:           8
        .value_kind:     by_value
      - .address_space:  global
        .offset:         32
        .size:           8
        .value_kind:     global_buffer
      - .address_space:  global
        .offset:         40
        .size:           8
        .value_kind:     global_buffer
      - .offset:         48
        .size:           8
        .value_kind:     by_value
      - .offset:         56
        .size:           8
        .value_kind:     by_value
      - .offset:         64
        .size:           8
        .value_kind:     by_value
      - .offset:         72
        .size:           8
        .value_kind:     by_value
      - .address_space:  global
        .offset:         80
        .size:           8
        .value_kind:     global_buffer
      - .offset:         88
        .size:           8
        .value_kind:     by_value
      - .offset:         96
        .size:           8
        .value_kind:     by_value
      - .offset:         104
        .size:           8
        .value_kind:     by_value
      - .offset:         112
        .size:           8
        .value_kind:     by_value
      - .address_space:  global
        .offset:         120
        .size:           8
        .value_kind:     global_buffer
      - .address_space:  global
        .offset:         128
        .size:           8
        .value_kind:     global_buffer
      - .offset:         136
        .size:           8
        .value_kind:     by_value
      - .offset:         144
        .size:           8
        .value_kind:     by_value
      - .offset:         152
        .size:           8
        .value_kind:     by_value
      - .offset:         160
        .size:           8
        .value_kind:     by_value
    .group_segment_fixed_size: 0
    .kernarg_segment_align: 8
    .kernarg_segment_size: 168
    .language:       OpenCL C
    .language_version:
      - 2
      - 0
    .max_flat_workgroup_size: 1024
    .name:           _ZN9rocsolver6v33100L16mfma_gemm_kernelI19rocblas_complex_numIdElPKS3_PS3_PKS6_S8_EEv18rocblas_operation_S9_T0_SA_SA_T1_T2_lSA_SA_lT3_lSA_SA_lSB_T4_lSA_SA_l
    .private_segment_fixed_size: 0
    .sgpr_count:     0
    .sgpr_spill_count: 0
    .symbol:         _ZN9rocsolver6v33100L16mfma_gemm_kernelI19rocblas_complex_numIdElPKS3_PS3_PKS6_S8_EEv18rocblas_operation_S9_T0_SA_SA_T1_T2_lSA_SA_lT3_lSA_SA_lSB_T4_lSA_SA_l.kd
    .uniform_work_group_size: 1
    .uses_dynamic_stack: false
    .vgpr_count:     0
    .vgpr_spill_count: 0
    .wavefront_size: 32
  - .args:
      - .offset:         0
        .size:           4
        .value_kind:     by_value
      - .offset:         4
        .size:           4
        .value_kind:     by_value
      - .offset:         8
        .size:           8
        .value_kind:     by_value
      - .offset:         16
        .size:           8
        .value_kind:     by_value
      - .offset:         24
        .size:           8
        .value_kind:     by_value
      - .offset:         32
        .size:           16
        .value_kind:     by_value
      - .address_space:  global
        .offset:         48
        .size:           8
        .value_kind:     global_buffer
      - .offset:         56
        .size:           8
        .value_kind:     by_value
      - .offset:         64
        .size:           8
        .value_kind:     by_value
      - .offset:         72
        .size:           8
        .value_kind:     by_value
      - .offset:         80
        .size:           8
        .value_kind:     by_value
      - .address_space:  global
        .offset:         88
        .size:           8
        .value_kind:     global_buffer
      - .offset:         96
        .size:           8
        .value_kind:     by_value
      - .offset:         104
        .size:           8
        .value_kind:     by_value
      - .offset:         112
        .size:           8
        .value_kind:     by_value
      - .offset:         120
        .size:           8
        .value_kind:     by_value
      - .offset:         128
        .size:           16
        .value_kind:     by_value
      - .address_space:  global
        .offset:         144
        .size:           8
        .value_kind:     global_buffer
      - .offset:         152
        .size:           8
        .value_kind:     by_value
      - .offset:         160
        .size:           8
        .value_kind:     by_value
      - .offset:         168
        .size:           8
        .value_kind:     by_value
      - .offset:         176
        .size:           8
        .value_kind:     by_value
    .group_segment_fixed_size: 0
    .kernarg_segment_align: 8
    .kernarg_segment_size: 184
    .language:       OpenCL C
    .language_version:
      - 2
      - 0
    .max_flat_workgroup_size: 1024
    .name:           _ZN9rocsolver6v33100L16mfma_gemm_kernelI19rocblas_complex_numIdElS3_PS3_PKS4_S6_EEv18rocblas_operation_S7_T0_S8_S8_T1_T2_lS8_S8_lT3_lS8_S8_lS9_T4_lS8_S8_l
    .private_segment_fixed_size: 0
    .sgpr_count:     0
    .sgpr_spill_count: 0
    .symbol:         _ZN9rocsolver6v33100L16mfma_gemm_kernelI19rocblas_complex_numIdElS3_PS3_PKS4_S6_EEv18rocblas_operation_S7_T0_S8_S8_T1_T2_lS8_S8_lT3_lS8_S8_lS9_T4_lS8_S8_l.kd
    .uniform_work_group_size: 1
    .uses_dynamic_stack: false
    .vgpr_count:     0
    .vgpr_spill_count: 0
    .wavefront_size: 32
  - .args:
      - .offset:         0
        .size:           8
        .value_kind:     by_value
      - .offset:         8
        .size:           8
        .value_kind:     by_value
      - .offset:         16
        .size:           8
        .value_kind:     by_value
      - .address_space:  global
        .offset:         24
        .size:           8
        .value_kind:     global_buffer
      - .offset:         32
        .size:           1
        .value_kind:     by_value
      - .address_space:  global
        .offset:         40
        .size:           8
        .value_kind:     global_buffer
      - .offset:         48
        .size:           8
        .value_kind:     by_value
      - .offset:         56
        .size:           8
        .value_kind:     by_value
      - .offset:         64
        .size:           8
        .value_kind:     by_value
      - .offset:         72
        .size:           8
        .value_kind:     by_value
      - .offset:         80
        .size:           1
        .value_kind:     by_value
      - .address_space:  global
        .offset:         88
        .size:           8
        .value_kind:     global_buffer
      - .offset:         96
        .size:           8
        .value_kind:     by_value
      - .offset:         104
        .size:           8
        .value_kind:     by_value
      - .offset:         112
        .size:           8
        .value_kind:     by_value
      - .offset:         120
        .size:           8
        .value_kind:     by_value
      - .address_space:  global
        .offset:         128
        .size:           8
        .value_kind:     global_buffer
      - .address_space:  global
        .offset:         136
        .size:           8
        .value_kind:     global_buffer
      - .offset:         144
        .size:           8
        .value_kind:     by_value
      - .offset:         152
        .size:           8
        .value_kind:     by_value
      - .offset:         160
        .size:           8
        .value_kind:     by_value
      - .offset:         168
        .size:           8
        .value_kind:     by_value
      - .offset:         176
        .size:           4
        .value_kind:     hidden_block_count_x
      - .offset:         180
        .size:           4
        .value_kind:     hidden_block_count_y
      - .offset:         184
        .size:           4
        .value_kind:     hidden_block_count_z
      - .offset:         188
        .size:           2
        .value_kind:     hidden_group_size_x
      - .offset:         190
        .size:           2
        .value_kind:     hidden_group_size_y
      - .offset:         192
        .size:           2
        .value_kind:     hidden_group_size_z
      - .offset:         194
        .size:           2
        .value_kind:     hidden_remainder_x
      - .offset:         196
        .size:           2
        .value_kind:     hidden_remainder_y
      - .offset:         198
        .size:           2
        .value_kind:     hidden_remainder_z
      - .offset:         216
        .size:           8
        .value_kind:     hidden_global_offset_x
      - .offset:         224
        .size:           8
        .value_kind:     hidden_global_offset_y
      - .offset:         232
        .size:           8
        .value_kind:     hidden_global_offset_z
      - .offset:         240
        .size:           2
        .value_kind:     hidden_grid_dims
    .group_segment_fixed_size: 0
    .kernarg_segment_align: 8
    .kernarg_segment_size: 432
    .language:       OpenCL C
    .language_version:
      - 2
      - 0
    .max_flat_workgroup_size: 1024
    .name:           _ZN9rocsolver6v33100L11gemm_kernelI19rocblas_complex_numIdElPKS3_PS3_PKS6_S8_EEvT0_S9_S9_T1_bT2_lS9_S9_lbT3_lS9_S9_lSA_T4_lS9_S9_l
    .private_segment_fixed_size: 0
    .sgpr_count:     46
    .sgpr_spill_count: 0
    .symbol:         _ZN9rocsolver6v33100L11gemm_kernelI19rocblas_complex_numIdElPKS3_PS3_PKS6_S8_EEvT0_S9_S9_T1_bT2_lS9_S9_lbT3_lS9_S9_lSA_T4_lS9_S9_l.kd
    .uniform_work_group_size: 1
    .uses_dynamic_stack: false
    .vgpr_count:     22
    .vgpr_spill_count: 0
    .wavefront_size: 32
  - .args:
      - .offset:         0
        .size:           8
        .value_kind:     by_value
      - .offset:         8
        .size:           8
        .value_kind:     by_value
      - .offset:         16
        .size:           8
        .value_kind:     by_value
      - .offset:         24
        .size:           16
        .value_kind:     by_value
      - .offset:         40
        .size:           1
        .value_kind:     by_value
      - .address_space:  global
        .offset:         48
        .size:           8
        .value_kind:     global_buffer
      - .offset:         56
        .size:           8
        .value_kind:     by_value
      - .offset:         64
        .size:           8
        .value_kind:     by_value
      - .offset:         72
        .size:           8
        .value_kind:     by_value
      - .offset:         80
        .size:           8
        .value_kind:     by_value
      - .offset:         88
        .size:           1
        .value_kind:     by_value
      - .address_space:  global
        .offset:         96
        .size:           8
        .value_kind:     global_buffer
      - .offset:         104
        .size:           8
        .value_kind:     by_value
      - .offset:         112
        .size:           8
        .value_kind:     by_value
      - .offset:         120
        .size:           8
        .value_kind:     by_value
      - .offset:         128
        .size:           8
        .value_kind:     by_value
      - .offset:         136
        .size:           16
        .value_kind:     by_value
      - .address_space:  global
        .offset:         152
        .size:           8
        .value_kind:     global_buffer
      - .offset:         160
        .size:           8
        .value_kind:     by_value
      - .offset:         168
        .size:           8
        .value_kind:     by_value
      - .offset:         176
        .size:           8
        .value_kind:     by_value
      - .offset:         184
        .size:           8
        .value_kind:     by_value
      - .offset:         192
        .size:           4
        .value_kind:     hidden_block_count_x
      - .offset:         196
        .size:           4
        .value_kind:     hidden_block_count_y
      - .offset:         200
        .size:           4
        .value_kind:     hidden_block_count_z
      - .offset:         204
        .size:           2
        .value_kind:     hidden_group_size_x
      - .offset:         206
        .size:           2
        .value_kind:     hidden_group_size_y
      - .offset:         208
        .size:           2
        .value_kind:     hidden_group_size_z
      - .offset:         210
        .size:           2
        .value_kind:     hidden_remainder_x
      - .offset:         212
        .size:           2
        .value_kind:     hidden_remainder_y
      - .offset:         214
        .size:           2
        .value_kind:     hidden_remainder_z
      - .offset:         232
        .size:           8
        .value_kind:     hidden_global_offset_x
      - .offset:         240
        .size:           8
        .value_kind:     hidden_global_offset_y
      - .offset:         248
        .size:           8
        .value_kind:     hidden_global_offset_z
      - .offset:         256
        .size:           2
        .value_kind:     hidden_grid_dims
    .group_segment_fixed_size: 0
    .kernarg_segment_align: 8
    .kernarg_segment_size: 448
    .language:       OpenCL C
    .language_version:
      - 2
      - 0
    .max_flat_workgroup_size: 1024
    .name:           _ZN9rocsolver6v33100L11gemm_kernelI19rocblas_complex_numIdElS3_PS3_PKS4_S6_EEvT0_S7_S7_T1_bT2_lS7_S7_lbT3_lS7_S7_lS8_T4_lS7_S7_l
    .private_segment_fixed_size: 0
    .sgpr_count:     49
    .sgpr_spill_count: 0
    .symbol:         _ZN9rocsolver6v33100L11gemm_kernelI19rocblas_complex_numIdElS3_PS3_PKS4_S6_EEvT0_S7_S7_T1_bT2_lS7_S7_lbT3_lS7_S7_lS8_T4_lS7_S7_l.kd
    .uniform_work_group_size: 1
    .uses_dynamic_stack: false
    .vgpr_count:     22
    .vgpr_spill_count: 0
    .wavefront_size: 32
  - .args:
      - .offset:         0
        .size:           4
        .value_kind:     by_value
      - .offset:         4
        .size:           4
        .value_kind:     by_value
      - .offset:         8
        .size:           8
        .value_kind:     by_value
      - .offset:         16
        .size:           8
        .value_kind:     by_value
      - .offset:         24
        .size:           8
        .value_kind:     by_value
      - .address_space:  global
        .offset:         32
        .size:           8
        .value_kind:     global_buffer
      - .address_space:  global
        .offset:         40
        .size:           8
        .value_kind:     global_buffer
      - .offset:         48
        .size:           8
        .value_kind:     by_value
      - .offset:         56
        .size:           8
        .value_kind:     by_value
      - .offset:         64
        .size:           8
        .value_kind:     by_value
      - .offset:         72
        .size:           8
        .value_kind:     by_value
      - .address_space:  global
        .offset:         80
        .size:           8
        .value_kind:     global_buffer
      - .offset:         88
        .size:           8
        .value_kind:     by_value
      - .offset:         96
        .size:           8
        .value_kind:     by_value
      - .offset:         104
        .size:           8
        .value_kind:     by_value
      - .offset:         112
        .size:           8
        .value_kind:     by_value
      - .address_space:  global
        .offset:         120
        .size:           8
        .value_kind:     global_buffer
      - .address_space:  global
        .offset:         128
        .size:           8
        .value_kind:     global_buffer
      - .offset:         136
        .size:           8
        .value_kind:     by_value
      - .offset:         144
        .size:           8
        .value_kind:     by_value
      - .offset:         152
        .size:           8
        .value_kind:     by_value
      - .offset:         160
        .size:           8
        .value_kind:     by_value
    .group_segment_fixed_size: 0
    .kernarg_segment_align: 8
    .kernarg_segment_size: 168
    .language:       OpenCL C
    .language_version:
      - 2
      - 0
    .max_flat_workgroup_size: 1024
    .name:           _ZN9rocsolver6v33100L16mfma_gemm_kernelI19rocblas_complex_numIdElPKS3_PKPS3_S6_S8_EEv18rocblas_operation_S9_T0_SA_SA_T1_T2_lSA_SA_lT3_lSA_SA_lSB_T4_lSA_SA_l
    .private_segment_fixed_size: 0
    .sgpr_count:     0
    .sgpr_spill_count: 0
    .symbol:         _ZN9rocsolver6v33100L16mfma_gemm_kernelI19rocblas_complex_numIdElPKS3_PKPS3_S6_S8_EEv18rocblas_operation_S9_T0_SA_SA_T1_T2_lSA_SA_lT3_lSA_SA_lSB_T4_lSA_SA_l.kd
    .uniform_work_group_size: 1
    .uses_dynamic_stack: false
    .vgpr_count:     0
    .vgpr_spill_count: 0
    .wavefront_size: 32
  - .args:
      - .offset:         0
        .size:           4
        .value_kind:     by_value
      - .offset:         4
        .size:           4
        .value_kind:     by_value
      - .offset:         8
        .size:           8
        .value_kind:     by_value
      - .offset:         16
        .size:           8
        .value_kind:     by_value
      - .offset:         24
        .size:           8
        .value_kind:     by_value
      - .offset:         32
        .size:           16
        .value_kind:     by_value
      - .address_space:  global
        .offset:         48
        .size:           8
        .value_kind:     global_buffer
      - .offset:         56
        .size:           8
        .value_kind:     by_value
      - .offset:         64
        .size:           8
        .value_kind:     by_value
      - .offset:         72
        .size:           8
        .value_kind:     by_value
      - .offset:         80
        .size:           8
        .value_kind:     by_value
      - .address_space:  global
        .offset:         88
        .size:           8
        .value_kind:     global_buffer
      - .offset:         96
        .size:           8
        .value_kind:     by_value
      - .offset:         104
        .size:           8
        .value_kind:     by_value
      - .offset:         112
        .size:           8
        .value_kind:     by_value
      - .offset:         120
        .size:           8
        .value_kind:     by_value
      - .offset:         128
        .size:           16
        .value_kind:     by_value
      - .address_space:  global
        .offset:         144
        .size:           8
        .value_kind:     global_buffer
      - .offset:         152
        .size:           8
        .value_kind:     by_value
      - .offset:         160
        .size:           8
        .value_kind:     by_value
      - .offset:         168
        .size:           8
        .value_kind:     by_value
      - .offset:         176
        .size:           8
        .value_kind:     by_value
    .group_segment_fixed_size: 0
    .kernarg_segment_align: 8
    .kernarg_segment_size: 184
    .language:       OpenCL C
    .language_version:
      - 2
      - 0
    .max_flat_workgroup_size: 1024
    .name:           _ZN9rocsolver6v33100L16mfma_gemm_kernelI19rocblas_complex_numIdElS3_PKPS3_S4_S6_EEv18rocblas_operation_S7_T0_S8_S8_T1_T2_lS8_S8_lT3_lS8_S8_lS9_T4_lS8_S8_l
    .private_segment_fixed_size: 0
    .sgpr_count:     0
    .sgpr_spill_count: 0
    .symbol:         _ZN9rocsolver6v33100L16mfma_gemm_kernelI19rocblas_complex_numIdElS3_PKPS3_S4_S6_EEv18rocblas_operation_S7_T0_S8_S8_T1_T2_lS8_S8_lT3_lS8_S8_lS9_T4_lS8_S8_l.kd
    .uniform_work_group_size: 1
    .uses_dynamic_stack: false
    .vgpr_count:     0
    .vgpr_spill_count: 0
    .wavefront_size: 32
  - .args:
      - .offset:         0
        .size:           8
        .value_kind:     by_value
      - .offset:         8
        .size:           8
        .value_kind:     by_value
      - .offset:         16
        .size:           8
        .value_kind:     by_value
      - .address_space:  global
        .offset:         24
        .size:           8
        .value_kind:     global_buffer
      - .offset:         32
        .size:           1
        .value_kind:     by_value
      - .address_space:  global
        .offset:         40
        .size:           8
        .value_kind:     global_buffer
      - .offset:         48
        .size:           8
        .value_kind:     by_value
      - .offset:         56
        .size:           8
        .value_kind:     by_value
      - .offset:         64
        .size:           8
        .value_kind:     by_value
      - .offset:         72
        .size:           8
        .value_kind:     by_value
      - .offset:         80
        .size:           1
        .value_kind:     by_value
      - .address_space:  global
        .offset:         88
        .size:           8
        .value_kind:     global_buffer
      - .offset:         96
        .size:           8
        .value_kind:     by_value
      - .offset:         104
        .size:           8
        .value_kind:     by_value
      - .offset:         112
        .size:           8
        .value_kind:     by_value
      - .offset:         120
        .size:           8
        .value_kind:     by_value
      - .address_space:  global
        .offset:         128
        .size:           8
        .value_kind:     global_buffer
      - .address_space:  global
        .offset:         136
        .size:           8
        .value_kind:     global_buffer
      - .offset:         144
        .size:           8
        .value_kind:     by_value
      - .offset:         152
        .size:           8
        .value_kind:     by_value
      - .offset:         160
        .size:           8
        .value_kind:     by_value
      - .offset:         168
        .size:           8
        .value_kind:     by_value
      - .offset:         176
        .size:           4
        .value_kind:     hidden_block_count_x
      - .offset:         180
        .size:           4
        .value_kind:     hidden_block_count_y
      - .offset:         184
        .size:           4
        .value_kind:     hidden_block_count_z
      - .offset:         188
        .size:           2
        .value_kind:     hidden_group_size_x
      - .offset:         190
        .size:           2
        .value_kind:     hidden_group_size_y
      - .offset:         192
        .size:           2
        .value_kind:     hidden_group_size_z
      - .offset:         194
        .size:           2
        .value_kind:     hidden_remainder_x
      - .offset:         196
        .size:           2
        .value_kind:     hidden_remainder_y
      - .offset:         198
        .size:           2
        .value_kind:     hidden_remainder_z
      - .offset:         216
        .size:           8
        .value_kind:     hidden_global_offset_x
      - .offset:         224
        .size:           8
        .value_kind:     hidden_global_offset_y
      - .offset:         232
        .size:           8
        .value_kind:     hidden_global_offset_z
      - .offset:         240
        .size:           2
        .value_kind:     hidden_grid_dims
    .group_segment_fixed_size: 0
    .kernarg_segment_align: 8
    .kernarg_segment_size: 432
    .language:       OpenCL C
    .language_version:
      - 2
      - 0
    .max_flat_workgroup_size: 1024
    .name:           _ZN9rocsolver6v33100L11gemm_kernelI19rocblas_complex_numIdElPKS3_PKPS3_S6_S8_EEvT0_S9_S9_T1_bT2_lS9_S9_lbT3_lS9_S9_lSA_T4_lS9_S9_l
    .private_segment_fixed_size: 0
    .sgpr_count:     38
    .sgpr_spill_count: 0
    .symbol:         _ZN9rocsolver6v33100L11gemm_kernelI19rocblas_complex_numIdElPKS3_PKPS3_S6_S8_EEvT0_S9_S9_T1_bT2_lS9_S9_lbT3_lS9_S9_lSA_T4_lS9_S9_l.kd
    .uniform_work_group_size: 1
    .uses_dynamic_stack: false
    .vgpr_count:     22
    .vgpr_spill_count: 0
    .wavefront_size: 32
  - .args:
      - .offset:         0
        .size:           8
        .value_kind:     by_value
      - .offset:         8
        .size:           8
        .value_kind:     by_value
      - .offset:         16
        .size:           8
        .value_kind:     by_value
      - .offset:         24
        .size:           16
        .value_kind:     by_value
      - .offset:         40
        .size:           1
        .value_kind:     by_value
      - .address_space:  global
        .offset:         48
        .size:           8
        .value_kind:     global_buffer
      - .offset:         56
        .size:           8
        .value_kind:     by_value
      - .offset:         64
        .size:           8
        .value_kind:     by_value
      - .offset:         72
        .size:           8
        .value_kind:     by_value
      - .offset:         80
        .size:           8
        .value_kind:     by_value
      - .offset:         88
        .size:           1
        .value_kind:     by_value
      - .address_space:  global
        .offset:         96
        .size:           8
        .value_kind:     global_buffer
      - .offset:         104
        .size:           8
        .value_kind:     by_value
      - .offset:         112
        .size:           8
        .value_kind:     by_value
      - .offset:         120
        .size:           8
        .value_kind:     by_value
      - .offset:         128
        .size:           8
        .value_kind:     by_value
      - .offset:         136
        .size:           16
        .value_kind:     by_value
      - .address_space:  global
        .offset:         152
        .size:           8
        .value_kind:     global_buffer
      - .offset:         160
        .size:           8
        .value_kind:     by_value
      - .offset:         168
        .size:           8
        .value_kind:     by_value
      - .offset:         176
        .size:           8
        .value_kind:     by_value
      - .offset:         184
        .size:           8
        .value_kind:     by_value
      - .offset:         192
        .size:           4
        .value_kind:     hidden_block_count_x
      - .offset:         196
        .size:           4
        .value_kind:     hidden_block_count_y
      - .offset:         200
        .size:           4
        .value_kind:     hidden_block_count_z
      - .offset:         204
        .size:           2
        .value_kind:     hidden_group_size_x
      - .offset:         206
        .size:           2
        .value_kind:     hidden_group_size_y
      - .offset:         208
        .size:           2
        .value_kind:     hidden_group_size_z
      - .offset:         210
        .size:           2
        .value_kind:     hidden_remainder_x
      - .offset:         212
        .size:           2
        .value_kind:     hidden_remainder_y
      - .offset:         214
        .size:           2
        .value_kind:     hidden_remainder_z
      - .offset:         232
        .size:           8
        .value_kind:     hidden_global_offset_x
      - .offset:         240
        .size:           8
        .value_kind:     hidden_global_offset_y
      - .offset:         248
        .size:           8
        .value_kind:     hidden_global_offset_z
      - .offset:         256
        .size:           2
        .value_kind:     hidden_grid_dims
    .group_segment_fixed_size: 0
    .kernarg_segment_align: 8
    .kernarg_segment_size: 448
    .language:       OpenCL C
    .language_version:
      - 2
      - 0
    .max_flat_workgroup_size: 1024
    .name:           _ZN9rocsolver6v33100L11gemm_kernelI19rocblas_complex_numIdElS3_PKPS3_S4_S6_EEvT0_S7_S7_T1_bT2_lS7_S7_lbT3_lS7_S7_lS8_T4_lS7_S7_l
    .private_segment_fixed_size: 0
    .sgpr_count:     40
    .sgpr_spill_count: 0
    .symbol:         _ZN9rocsolver6v33100L11gemm_kernelI19rocblas_complex_numIdElS3_PKPS3_S4_S6_EEvT0_S7_S7_T1_bT2_lS7_S7_lbT3_lS7_S7_lS8_T4_lS7_S7_l.kd
    .uniform_work_group_size: 1
    .uses_dynamic_stack: false
    .vgpr_count:     22
    .vgpr_spill_count: 0
    .wavefront_size: 32
  - .args:
      - .offset:         0
        .size:           4
        .value_kind:     by_value
      - .offset:         4
        .size:           4
        .value_kind:     by_value
      - .offset:         8
        .size:           8
        .value_kind:     by_value
      - .offset:         16
        .size:           8
        .value_kind:     by_value
      - .offset:         24
        .size:           8
        .value_kind:     by_value
      - .address_space:  global
        .offset:         32
        .size:           8
        .value_kind:     global_buffer
      - .address_space:  global
        .offset:         40
        .size:           8
        .value_kind:     global_buffer
      - .offset:         48
        .size:           8
        .value_kind:     by_value
      - .offset:         56
        .size:           8
        .value_kind:     by_value
      - .offset:         64
        .size:           8
        .value_kind:     by_value
      - .offset:         72
        .size:           8
        .value_kind:     by_value
      - .address_space:  global
        .offset:         80
        .size:           8
        .value_kind:     global_buffer
      - .offset:         88
        .size:           8
        .value_kind:     by_value
      - .offset:         96
        .size:           8
        .value_kind:     by_value
      - .offset:         104
        .size:           8
        .value_kind:     by_value
      - .offset:         112
        .size:           8
        .value_kind:     by_value
      - .address_space:  global
        .offset:         120
        .size:           8
        .value_kind:     global_buffer
      - .address_space:  global
        .offset:         128
        .size:           8
        .value_kind:     global_buffer
      - .offset:         136
        .size:           8
        .value_kind:     by_value
      - .offset:         144
        .size:           8
        .value_kind:     by_value
      - .offset:         152
        .size:           8
        .value_kind:     by_value
      - .offset:         160
        .size:           8
        .value_kind:     by_value
    .group_segment_fixed_size: 0
    .kernarg_segment_align: 8
    .kernarg_segment_size: 168
    .language:       OpenCL C
    .language_version:
      - 2
      - 0
    .max_flat_workgroup_size: 1024
    .name:           _ZN9rocsolver6v33100L16mfma_gemm_kernelI19rocblas_complex_numIdElPKS3_PKPS3_S8_S6_EEv18rocblas_operation_S9_T0_SA_SA_T1_T2_lSA_SA_lT3_lSA_SA_lSB_T4_lSA_SA_l
    .private_segment_fixed_size: 0
    .sgpr_count:     0
    .sgpr_spill_count: 0
    .symbol:         _ZN9rocsolver6v33100L16mfma_gemm_kernelI19rocblas_complex_numIdElPKS3_PKPS3_S8_S6_EEv18rocblas_operation_S9_T0_SA_SA_T1_T2_lSA_SA_lT3_lSA_SA_lSB_T4_lSA_SA_l.kd
    .uniform_work_group_size: 1
    .uses_dynamic_stack: false
    .vgpr_count:     0
    .vgpr_spill_count: 0
    .wavefront_size: 32
  - .args:
      - .offset:         0
        .size:           4
        .value_kind:     by_value
      - .offset:         4
        .size:           4
        .value_kind:     by_value
      - .offset:         8
        .size:           8
        .value_kind:     by_value
      - .offset:         16
        .size:           8
        .value_kind:     by_value
      - .offset:         24
        .size:           8
        .value_kind:     by_value
      - .offset:         32
        .size:           16
        .value_kind:     by_value
      - .address_space:  global
        .offset:         48
        .size:           8
        .value_kind:     global_buffer
      - .offset:         56
        .size:           8
        .value_kind:     by_value
      - .offset:         64
        .size:           8
        .value_kind:     by_value
      - .offset:         72
        .size:           8
        .value_kind:     by_value
      - .offset:         80
        .size:           8
        .value_kind:     by_value
      - .address_space:  global
        .offset:         88
        .size:           8
        .value_kind:     global_buffer
      - .offset:         96
        .size:           8
        .value_kind:     by_value
      - .offset:         104
        .size:           8
        .value_kind:     by_value
      - .offset:         112
        .size:           8
        .value_kind:     by_value
      - .offset:         120
        .size:           8
        .value_kind:     by_value
      - .offset:         128
        .size:           16
        .value_kind:     by_value
      - .address_space:  global
        .offset:         144
        .size:           8
        .value_kind:     global_buffer
      - .offset:         152
        .size:           8
        .value_kind:     by_value
      - .offset:         160
        .size:           8
        .value_kind:     by_value
      - .offset:         168
        .size:           8
        .value_kind:     by_value
      - .offset:         176
        .size:           8
        .value_kind:     by_value
    .group_segment_fixed_size: 0
    .kernarg_segment_align: 8
    .kernarg_segment_size: 184
    .language:       OpenCL C
    .language_version:
      - 2
      - 0
    .max_flat_workgroup_size: 1024
    .name:           _ZN9rocsolver6v33100L16mfma_gemm_kernelI19rocblas_complex_numIdElS3_PKPS3_S6_S4_EEv18rocblas_operation_S7_T0_S8_S8_T1_T2_lS8_S8_lT3_lS8_S8_lS9_T4_lS8_S8_l
    .private_segment_fixed_size: 0
    .sgpr_count:     0
    .sgpr_spill_count: 0
    .symbol:         _ZN9rocsolver6v33100L16mfma_gemm_kernelI19rocblas_complex_numIdElS3_PKPS3_S6_S4_EEv18rocblas_operation_S7_T0_S8_S8_T1_T2_lS8_S8_lT3_lS8_S8_lS9_T4_lS8_S8_l.kd
    .uniform_work_group_size: 1
    .uses_dynamic_stack: false
    .vgpr_count:     0
    .vgpr_spill_count: 0
    .wavefront_size: 32
  - .args:
      - .offset:         0
        .size:           8
        .value_kind:     by_value
      - .offset:         8
        .size:           8
        .value_kind:     by_value
      - .offset:         16
        .size:           8
        .value_kind:     by_value
      - .address_space:  global
        .offset:         24
        .size:           8
        .value_kind:     global_buffer
      - .offset:         32
        .size:           1
        .value_kind:     by_value
      - .address_space:  global
        .offset:         40
        .size:           8
        .value_kind:     global_buffer
      - .offset:         48
        .size:           8
        .value_kind:     by_value
      - .offset:         56
        .size:           8
        .value_kind:     by_value
      - .offset:         64
        .size:           8
        .value_kind:     by_value
      - .offset:         72
        .size:           8
        .value_kind:     by_value
      - .offset:         80
        .size:           1
        .value_kind:     by_value
      - .address_space:  global
        .offset:         88
        .size:           8
        .value_kind:     global_buffer
      - .offset:         96
        .size:           8
        .value_kind:     by_value
      - .offset:         104
        .size:           8
        .value_kind:     by_value
      - .offset:         112
        .size:           8
        .value_kind:     by_value
      - .offset:         120
        .size:           8
        .value_kind:     by_value
      - .address_space:  global
        .offset:         128
        .size:           8
        .value_kind:     global_buffer
      - .address_space:  global
        .offset:         136
        .size:           8
        .value_kind:     global_buffer
      - .offset:         144
        .size:           8
        .value_kind:     by_value
      - .offset:         152
        .size:           8
        .value_kind:     by_value
      - .offset:         160
        .size:           8
        .value_kind:     by_value
      - .offset:         168
        .size:           8
        .value_kind:     by_value
      - .offset:         176
        .size:           4
        .value_kind:     hidden_block_count_x
      - .offset:         180
        .size:           4
        .value_kind:     hidden_block_count_y
      - .offset:         184
        .size:           4
        .value_kind:     hidden_block_count_z
      - .offset:         188
        .size:           2
        .value_kind:     hidden_group_size_x
      - .offset:         190
        .size:           2
        .value_kind:     hidden_group_size_y
      - .offset:         192
        .size:           2
        .value_kind:     hidden_group_size_z
      - .offset:         194
        .size:           2
        .value_kind:     hidden_remainder_x
      - .offset:         196
        .size:           2
        .value_kind:     hidden_remainder_y
      - .offset:         198
        .size:           2
        .value_kind:     hidden_remainder_z
      - .offset:         216
        .size:           8
        .value_kind:     hidden_global_offset_x
      - .offset:         224
        .size:           8
        .value_kind:     hidden_global_offset_y
      - .offset:         232
        .size:           8
        .value_kind:     hidden_global_offset_z
      - .offset:         240
        .size:           2
        .value_kind:     hidden_grid_dims
    .group_segment_fixed_size: 0
    .kernarg_segment_align: 8
    .kernarg_segment_size: 432
    .language:       OpenCL C
    .language_version:
      - 2
      - 0
    .max_flat_workgroup_size: 1024
    .name:           _ZN9rocsolver6v33100L11gemm_kernelI19rocblas_complex_numIdElPKS3_PKPS3_S8_S6_EEvT0_S9_S9_T1_bT2_lS9_S9_lbT3_lS9_S9_lSA_T4_lS9_S9_l
    .private_segment_fixed_size: 0
    .sgpr_count:     42
    .sgpr_spill_count: 0
    .symbol:         _ZN9rocsolver6v33100L11gemm_kernelI19rocblas_complex_numIdElPKS3_PKPS3_S8_S6_EEvT0_S9_S9_T1_bT2_lS9_S9_lbT3_lS9_S9_lSA_T4_lS9_S9_l.kd
    .uniform_work_group_size: 1
    .uses_dynamic_stack: false
    .vgpr_count:     22
    .vgpr_spill_count: 0
    .wavefront_size: 32
  - .args:
      - .offset:         0
        .size:           8
        .value_kind:     by_value
      - .offset:         8
        .size:           8
        .value_kind:     by_value
      - .offset:         16
        .size:           8
        .value_kind:     by_value
      - .offset:         24
        .size:           16
        .value_kind:     by_value
      - .offset:         40
        .size:           1
        .value_kind:     by_value
      - .address_space:  global
        .offset:         48
        .size:           8
        .value_kind:     global_buffer
      - .offset:         56
        .size:           8
        .value_kind:     by_value
      - .offset:         64
        .size:           8
        .value_kind:     by_value
      - .offset:         72
        .size:           8
        .value_kind:     by_value
      - .offset:         80
        .size:           8
        .value_kind:     by_value
      - .offset:         88
        .size:           1
        .value_kind:     by_value
      - .address_space:  global
        .offset:         96
        .size:           8
        .value_kind:     global_buffer
      - .offset:         104
        .size:           8
        .value_kind:     by_value
      - .offset:         112
        .size:           8
        .value_kind:     by_value
      - .offset:         120
        .size:           8
        .value_kind:     by_value
      - .offset:         128
        .size:           8
        .value_kind:     by_value
      - .offset:         136
        .size:           16
        .value_kind:     by_value
      - .address_space:  global
        .offset:         152
        .size:           8
        .value_kind:     global_buffer
      - .offset:         160
        .size:           8
        .value_kind:     by_value
      - .offset:         168
        .size:           8
        .value_kind:     by_value
      - .offset:         176
        .size:           8
        .value_kind:     by_value
      - .offset:         184
        .size:           8
        .value_kind:     by_value
      - .offset:         192
        .size:           4
        .value_kind:     hidden_block_count_x
      - .offset:         196
        .size:           4
        .value_kind:     hidden_block_count_y
      - .offset:         200
        .size:           4
        .value_kind:     hidden_block_count_z
      - .offset:         204
        .size:           2
        .value_kind:     hidden_group_size_x
      - .offset:         206
        .size:           2
        .value_kind:     hidden_group_size_y
      - .offset:         208
        .size:           2
        .value_kind:     hidden_group_size_z
      - .offset:         210
        .size:           2
        .value_kind:     hidden_remainder_x
      - .offset:         212
        .size:           2
        .value_kind:     hidden_remainder_y
      - .offset:         214
        .size:           2
        .value_kind:     hidden_remainder_z
      - .offset:         232
        .size:           8
        .value_kind:     hidden_global_offset_x
      - .offset:         240
        .size:           8
        .value_kind:     hidden_global_offset_y
      - .offset:         248
        .size:           8
        .value_kind:     hidden_global_offset_z
      - .offset:         256
        .size:           2
        .value_kind:     hidden_grid_dims
    .group_segment_fixed_size: 0
    .kernarg_segment_align: 8
    .kernarg_segment_size: 448
    .language:       OpenCL C
    .language_version:
      - 2
      - 0
    .max_flat_workgroup_size: 1024
    .name:           _ZN9rocsolver6v33100L11gemm_kernelI19rocblas_complex_numIdElS3_PKPS3_S6_S4_EEvT0_S7_S7_T1_bT2_lS7_S7_lbT3_lS7_S7_lS8_T4_lS7_S7_l
    .private_segment_fixed_size: 0
    .sgpr_count:     46
    .sgpr_spill_count: 0
    .symbol:         _ZN9rocsolver6v33100L11gemm_kernelI19rocblas_complex_numIdElS3_PKPS3_S6_S4_EEvT0_S7_S7_T1_bT2_lS7_S7_lbT3_lS7_S7_lS8_T4_lS7_S7_l.kd
    .uniform_work_group_size: 1
    .uses_dynamic_stack: false
    .vgpr_count:     22
    .vgpr_spill_count: 0
    .wavefront_size: 32
  - .args:
      - .offset:         0
        .size:           4
        .value_kind:     by_value
      - .offset:         4
        .size:           4
        .value_kind:     by_value
      - .offset:         8
        .size:           8
        .value_kind:     by_value
      - .offset:         16
        .size:           8
        .value_kind:     by_value
      - .offset:         24
        .size:           8
        .value_kind:     by_value
      - .address_space:  global
        .offset:         32
        .size:           8
        .value_kind:     global_buffer
      - .address_space:  global
        .offset:         40
        .size:           8
        .value_kind:     global_buffer
      - .offset:         48
        .size:           8
        .value_kind:     by_value
      - .offset:         56
        .size:           8
        .value_kind:     by_value
      - .offset:         64
        .size:           8
        .value_kind:     by_value
      - .offset:         72
        .size:           8
        .value_kind:     by_value
      - .address_space:  global
        .offset:         80
        .size:           8
        .value_kind:     global_buffer
      - .offset:         88
        .size:           8
        .value_kind:     by_value
      - .offset:         96
        .size:           8
        .value_kind:     by_value
      - .offset:         104
        .size:           8
        .value_kind:     by_value
      - .offset:         112
        .size:           8
        .value_kind:     by_value
      - .address_space:  global
        .offset:         120
        .size:           8
        .value_kind:     global_buffer
      - .address_space:  global
        .offset:         128
        .size:           8
        .value_kind:     global_buffer
      - .offset:         136
        .size:           8
        .value_kind:     by_value
      - .offset:         144
        .size:           8
        .value_kind:     by_value
      - .offset:         152
        .size:           8
        .value_kind:     by_value
      - .offset:         160
        .size:           8
        .value_kind:     by_value
    .group_segment_fixed_size: 0
    .kernarg_segment_align: 8
    .kernarg_segment_size: 168
    .language:       OpenCL C
    .language_version:
      - 2
      - 0
    .max_flat_workgroup_size: 1024
    .name:           _ZN9rocsolver6v33100L16mfma_gemm_kernelI19rocblas_complex_numIdElPKS3_PKPS3_S6_S6_EEv18rocblas_operation_S9_T0_SA_SA_T1_T2_lSA_SA_lT3_lSA_SA_lSB_T4_lSA_SA_l
    .private_segment_fixed_size: 0
    .sgpr_count:     0
    .sgpr_spill_count: 0
    .symbol:         _ZN9rocsolver6v33100L16mfma_gemm_kernelI19rocblas_complex_numIdElPKS3_PKPS3_S6_S6_EEv18rocblas_operation_S9_T0_SA_SA_T1_T2_lSA_SA_lT3_lSA_SA_lSB_T4_lSA_SA_l.kd
    .uniform_work_group_size: 1
    .uses_dynamic_stack: false
    .vgpr_count:     0
    .vgpr_spill_count: 0
    .wavefront_size: 32
  - .args:
      - .offset:         0
        .size:           4
        .value_kind:     by_value
      - .offset:         4
        .size:           4
        .value_kind:     by_value
      - .offset:         8
        .size:           8
        .value_kind:     by_value
      - .offset:         16
        .size:           8
        .value_kind:     by_value
      - .offset:         24
        .size:           8
        .value_kind:     by_value
      - .offset:         32
        .size:           16
        .value_kind:     by_value
      - .address_space:  global
        .offset:         48
        .size:           8
        .value_kind:     global_buffer
      - .offset:         56
        .size:           8
        .value_kind:     by_value
      - .offset:         64
        .size:           8
        .value_kind:     by_value
      - .offset:         72
        .size:           8
        .value_kind:     by_value
      - .offset:         80
        .size:           8
        .value_kind:     by_value
      - .address_space:  global
        .offset:         88
        .size:           8
        .value_kind:     global_buffer
      - .offset:         96
        .size:           8
        .value_kind:     by_value
      - .offset:         104
        .size:           8
        .value_kind:     by_value
      - .offset:         112
        .size:           8
        .value_kind:     by_value
      - .offset:         120
        .size:           8
        .value_kind:     by_value
      - .offset:         128
        .size:           16
        .value_kind:     by_value
      - .address_space:  global
        .offset:         144
        .size:           8
        .value_kind:     global_buffer
      - .offset:         152
        .size:           8
        .value_kind:     by_value
      - .offset:         160
        .size:           8
        .value_kind:     by_value
      - .offset:         168
        .size:           8
        .value_kind:     by_value
      - .offset:         176
        .size:           8
        .value_kind:     by_value
    .group_segment_fixed_size: 0
    .kernarg_segment_align: 8
    .kernarg_segment_size: 184
    .language:       OpenCL C
    .language_version:
      - 2
      - 0
    .max_flat_workgroup_size: 1024
    .name:           _ZN9rocsolver6v33100L16mfma_gemm_kernelI19rocblas_complex_numIdElS3_PKPS3_S4_S4_EEv18rocblas_operation_S7_T0_S8_S8_T1_T2_lS8_S8_lT3_lS8_S8_lS9_T4_lS8_S8_l
    .private_segment_fixed_size: 0
    .sgpr_count:     0
    .sgpr_spill_count: 0
    .symbol:         _ZN9rocsolver6v33100L16mfma_gemm_kernelI19rocblas_complex_numIdElS3_PKPS3_S4_S4_EEv18rocblas_operation_S7_T0_S8_S8_T1_T2_lS8_S8_lT3_lS8_S8_lS9_T4_lS8_S8_l.kd
    .uniform_work_group_size: 1
    .uses_dynamic_stack: false
    .vgpr_count:     0
    .vgpr_spill_count: 0
    .wavefront_size: 32
  - .args:
      - .offset:         0
        .size:           8
        .value_kind:     by_value
      - .offset:         8
        .size:           8
        .value_kind:     by_value
      - .offset:         16
        .size:           8
        .value_kind:     by_value
      - .address_space:  global
        .offset:         24
        .size:           8
        .value_kind:     global_buffer
      - .offset:         32
        .size:           1
        .value_kind:     by_value
      - .address_space:  global
        .offset:         40
        .size:           8
        .value_kind:     global_buffer
      - .offset:         48
        .size:           8
        .value_kind:     by_value
      - .offset:         56
        .size:           8
        .value_kind:     by_value
      - .offset:         64
        .size:           8
        .value_kind:     by_value
      - .offset:         72
        .size:           8
        .value_kind:     by_value
      - .offset:         80
        .size:           1
        .value_kind:     by_value
      - .address_space:  global
        .offset:         88
        .size:           8
        .value_kind:     global_buffer
      - .offset:         96
        .size:           8
        .value_kind:     by_value
      - .offset:         104
        .size:           8
        .value_kind:     by_value
      - .offset:         112
        .size:           8
        .value_kind:     by_value
      - .offset:         120
        .size:           8
        .value_kind:     by_value
      - .address_space:  global
        .offset:         128
        .size:           8
        .value_kind:     global_buffer
      - .address_space:  global
        .offset:         136
        .size:           8
        .value_kind:     global_buffer
      - .offset:         144
        .size:           8
        .value_kind:     by_value
      - .offset:         152
        .size:           8
        .value_kind:     by_value
      - .offset:         160
        .size:           8
        .value_kind:     by_value
      - .offset:         168
        .size:           8
        .value_kind:     by_value
      - .offset:         176
        .size:           4
        .value_kind:     hidden_block_count_x
      - .offset:         180
        .size:           4
        .value_kind:     hidden_block_count_y
      - .offset:         184
        .size:           4
        .value_kind:     hidden_block_count_z
      - .offset:         188
        .size:           2
        .value_kind:     hidden_group_size_x
      - .offset:         190
        .size:           2
        .value_kind:     hidden_group_size_y
      - .offset:         192
        .size:           2
        .value_kind:     hidden_group_size_z
      - .offset:         194
        .size:           2
        .value_kind:     hidden_remainder_x
      - .offset:         196
        .size:           2
        .value_kind:     hidden_remainder_y
      - .offset:         198
        .size:           2
        .value_kind:     hidden_remainder_z
      - .offset:         216
        .size:           8
        .value_kind:     hidden_global_offset_x
      - .offset:         224
        .size:           8
        .value_kind:     hidden_global_offset_y
      - .offset:         232
        .size:           8
        .value_kind:     hidden_global_offset_z
      - .offset:         240
        .size:           2
        .value_kind:     hidden_grid_dims
    .group_segment_fixed_size: 0
    .kernarg_segment_align: 8
    .kernarg_segment_size: 432
    .language:       OpenCL C
    .language_version:
      - 2
      - 0
    .max_flat_workgroup_size: 1024
    .name:           _ZN9rocsolver6v33100L11gemm_kernelI19rocblas_complex_numIdElPKS3_PKPS3_S6_S6_EEvT0_S9_S9_T1_bT2_lS9_S9_lbT3_lS9_S9_lSA_T4_lS9_S9_l
    .private_segment_fixed_size: 0
    .sgpr_count:     38
    .sgpr_spill_count: 0
    .symbol:         _ZN9rocsolver6v33100L11gemm_kernelI19rocblas_complex_numIdElPKS3_PKPS3_S6_S6_EEvT0_S9_S9_T1_bT2_lS9_S9_lbT3_lS9_S9_lSA_T4_lS9_S9_l.kd
    .uniform_work_group_size: 1
    .uses_dynamic_stack: false
    .vgpr_count:     22
    .vgpr_spill_count: 0
    .wavefront_size: 32
  - .args:
      - .offset:         0
        .size:           8
        .value_kind:     by_value
      - .offset:         8
        .size:           8
        .value_kind:     by_value
      - .offset:         16
        .size:           8
        .value_kind:     by_value
      - .offset:         24
        .size:           16
        .value_kind:     by_value
      - .offset:         40
        .size:           1
        .value_kind:     by_value
      - .address_space:  global
        .offset:         48
        .size:           8
        .value_kind:     global_buffer
      - .offset:         56
        .size:           8
        .value_kind:     by_value
      - .offset:         64
        .size:           8
        .value_kind:     by_value
      - .offset:         72
        .size:           8
        .value_kind:     by_value
      - .offset:         80
        .size:           8
        .value_kind:     by_value
      - .offset:         88
        .size:           1
        .value_kind:     by_value
      - .address_space:  global
        .offset:         96
        .size:           8
        .value_kind:     global_buffer
      - .offset:         104
        .size:           8
        .value_kind:     by_value
      - .offset:         112
        .size:           8
        .value_kind:     by_value
      - .offset:         120
        .size:           8
        .value_kind:     by_value
      - .offset:         128
        .size:           8
        .value_kind:     by_value
      - .offset:         136
        .size:           16
        .value_kind:     by_value
      - .address_space:  global
        .offset:         152
        .size:           8
        .value_kind:     global_buffer
      - .offset:         160
        .size:           8
        .value_kind:     by_value
      - .offset:         168
        .size:           8
        .value_kind:     by_value
      - .offset:         176
        .size:           8
        .value_kind:     by_value
      - .offset:         184
        .size:           8
        .value_kind:     by_value
      - .offset:         192
        .size:           4
        .value_kind:     hidden_block_count_x
      - .offset:         196
        .size:           4
        .value_kind:     hidden_block_count_y
      - .offset:         200
        .size:           4
        .value_kind:     hidden_block_count_z
      - .offset:         204
        .size:           2
        .value_kind:     hidden_group_size_x
      - .offset:         206
        .size:           2
        .value_kind:     hidden_group_size_y
      - .offset:         208
        .size:           2
        .value_kind:     hidden_group_size_z
      - .offset:         210
        .size:           2
        .value_kind:     hidden_remainder_x
      - .offset:         212
        .size:           2
        .value_kind:     hidden_remainder_y
      - .offset:         214
        .size:           2
        .value_kind:     hidden_remainder_z
      - .offset:         232
        .size:           8
        .value_kind:     hidden_global_offset_x
      - .offset:         240
        .size:           8
        .value_kind:     hidden_global_offset_y
      - .offset:         248
        .size:           8
        .value_kind:     hidden_global_offset_z
      - .offset:         256
        .size:           2
        .value_kind:     hidden_grid_dims
    .group_segment_fixed_size: 0
    .kernarg_segment_align: 8
    .kernarg_segment_size: 448
    .language:       OpenCL C
    .language_version:
      - 2
      - 0
    .max_flat_workgroup_size: 1024
    .name:           _ZN9rocsolver6v33100L11gemm_kernelI19rocblas_complex_numIdElS3_PKPS3_S4_S4_EEvT0_S7_S7_T1_bT2_lS7_S7_lbT3_lS7_S7_lS8_T4_lS7_S7_l
    .private_segment_fixed_size: 0
    .sgpr_count:     40
    .sgpr_spill_count: 0
    .symbol:         _ZN9rocsolver6v33100L11gemm_kernelI19rocblas_complex_numIdElS3_PKPS3_S4_S4_EEvT0_S7_S7_T1_bT2_lS7_S7_lbT3_lS7_S7_lS8_T4_lS7_S7_l.kd
    .uniform_work_group_size: 1
    .uses_dynamic_stack: false
    .vgpr_count:     22
    .vgpr_spill_count: 0
    .wavefront_size: 32
  - .args:
      - .offset:         0
        .size:           4
        .value_kind:     by_value
      - .offset:         4
        .size:           4
        .value_kind:     by_value
      - .offset:         8
        .size:           8
        .value_kind:     by_value
      - .offset:         16
        .size:           8
        .value_kind:     by_value
      - .offset:         24
        .size:           8
        .value_kind:     by_value
      - .address_space:  global
        .offset:         32
        .size:           8
        .value_kind:     global_buffer
      - .address_space:  global
        .offset:         40
        .size:           8
        .value_kind:     global_buffer
      - .offset:         48
        .size:           8
        .value_kind:     by_value
      - .offset:         56
        .size:           8
        .value_kind:     by_value
      - .offset:         64
        .size:           8
        .value_kind:     by_value
      - .offset:         72
        .size:           8
        .value_kind:     by_value
      - .address_space:  global
        .offset:         80
        .size:           8
        .value_kind:     global_buffer
      - .offset:         88
        .size:           8
        .value_kind:     by_value
      - .offset:         96
        .size:           8
        .value_kind:     by_value
      - .offset:         104
        .size:           8
        .value_kind:     by_value
      - .offset:         112
        .size:           8
        .value_kind:     by_value
      - .address_space:  global
        .offset:         120
        .size:           8
        .value_kind:     global_buffer
      - .address_space:  global
        .offset:         128
        .size:           8
        .value_kind:     global_buffer
      - .offset:         136
        .size:           8
        .value_kind:     by_value
      - .offset:         144
        .size:           8
        .value_kind:     by_value
      - .offset:         152
        .size:           8
        .value_kind:     by_value
      - .offset:         160
        .size:           8
        .value_kind:     by_value
    .group_segment_fixed_size: 0
    .kernarg_segment_align: 8
    .kernarg_segment_size: 168
    .language:       OpenCL C
    .language_version:
      - 2
      - 0
    .max_flat_workgroup_size: 1024
    .name:           _ZN9rocsolver6v33100L16mfma_gemm_kernelI19rocblas_complex_numIdElPKS3_PS3_PKS6_S6_EEv18rocblas_operation_S9_T0_SA_SA_T1_T2_lSA_SA_lT3_lSA_SA_lSB_T4_lSA_SA_l
    .private_segment_fixed_size: 0
    .sgpr_count:     0
    .sgpr_spill_count: 0
    .symbol:         _ZN9rocsolver6v33100L16mfma_gemm_kernelI19rocblas_complex_numIdElPKS3_PS3_PKS6_S6_EEv18rocblas_operation_S9_T0_SA_SA_T1_T2_lSA_SA_lT3_lSA_SA_lSB_T4_lSA_SA_l.kd
    .uniform_work_group_size: 1
    .uses_dynamic_stack: false
    .vgpr_count:     0
    .vgpr_spill_count: 0
    .wavefront_size: 32
  - .args:
      - .offset:         0
        .size:           4
        .value_kind:     by_value
      - .offset:         4
        .size:           4
        .value_kind:     by_value
      - .offset:         8
        .size:           8
        .value_kind:     by_value
      - .offset:         16
        .size:           8
        .value_kind:     by_value
      - .offset:         24
        .size:           8
        .value_kind:     by_value
      - .offset:         32
        .size:           16
        .value_kind:     by_value
      - .address_space:  global
        .offset:         48
        .size:           8
        .value_kind:     global_buffer
      - .offset:         56
        .size:           8
        .value_kind:     by_value
      - .offset:         64
        .size:           8
        .value_kind:     by_value
      - .offset:         72
        .size:           8
        .value_kind:     by_value
      - .offset:         80
        .size:           8
        .value_kind:     by_value
      - .address_space:  global
        .offset:         88
        .size:           8
        .value_kind:     global_buffer
      - .offset:         96
        .size:           8
        .value_kind:     by_value
      - .offset:         104
        .size:           8
        .value_kind:     by_value
      - .offset:         112
        .size:           8
        .value_kind:     by_value
      - .offset:         120
        .size:           8
        .value_kind:     by_value
      - .offset:         128
        .size:           16
        .value_kind:     by_value
      - .address_space:  global
        .offset:         144
        .size:           8
        .value_kind:     global_buffer
      - .offset:         152
        .size:           8
        .value_kind:     by_value
      - .offset:         160
        .size:           8
        .value_kind:     by_value
      - .offset:         168
        .size:           8
        .value_kind:     by_value
      - .offset:         176
        .size:           8
        .value_kind:     by_value
    .group_segment_fixed_size: 0
    .kernarg_segment_align: 8
    .kernarg_segment_size: 184
    .language:       OpenCL C
    .language_version:
      - 2
      - 0
    .max_flat_workgroup_size: 1024
    .name:           _ZN9rocsolver6v33100L16mfma_gemm_kernelI19rocblas_complex_numIdElS3_PS3_PKS4_S4_EEv18rocblas_operation_S7_T0_S8_S8_T1_T2_lS8_S8_lT3_lS8_S8_lS9_T4_lS8_S8_l
    .private_segment_fixed_size: 0
    .sgpr_count:     0
    .sgpr_spill_count: 0
    .symbol:         _ZN9rocsolver6v33100L16mfma_gemm_kernelI19rocblas_complex_numIdElS3_PS3_PKS4_S4_EEv18rocblas_operation_S7_T0_S8_S8_T1_T2_lS8_S8_lT3_lS8_S8_lS9_T4_lS8_S8_l.kd
    .uniform_work_group_size: 1
    .uses_dynamic_stack: false
    .vgpr_count:     0
    .vgpr_spill_count: 0
    .wavefront_size: 32
  - .args:
      - .offset:         0
        .size:           8
        .value_kind:     by_value
      - .offset:         8
        .size:           8
        .value_kind:     by_value
      - .offset:         16
        .size:           8
        .value_kind:     by_value
      - .address_space:  global
        .offset:         24
        .size:           8
        .value_kind:     global_buffer
      - .offset:         32
        .size:           1
        .value_kind:     by_value
      - .address_space:  global
        .offset:         40
        .size:           8
        .value_kind:     global_buffer
      - .offset:         48
        .size:           8
        .value_kind:     by_value
      - .offset:         56
        .size:           8
        .value_kind:     by_value
      - .offset:         64
        .size:           8
        .value_kind:     by_value
      - .offset:         72
        .size:           8
        .value_kind:     by_value
      - .offset:         80
        .size:           1
        .value_kind:     by_value
      - .address_space:  global
        .offset:         88
        .size:           8
        .value_kind:     global_buffer
      - .offset:         96
        .size:           8
        .value_kind:     by_value
      - .offset:         104
        .size:           8
        .value_kind:     by_value
      - .offset:         112
        .size:           8
        .value_kind:     by_value
      - .offset:         120
        .size:           8
        .value_kind:     by_value
      - .address_space:  global
        .offset:         128
        .size:           8
        .value_kind:     global_buffer
      - .address_space:  global
        .offset:         136
        .size:           8
        .value_kind:     global_buffer
      - .offset:         144
        .size:           8
        .value_kind:     by_value
      - .offset:         152
        .size:           8
        .value_kind:     by_value
      - .offset:         160
        .size:           8
        .value_kind:     by_value
      - .offset:         168
        .size:           8
        .value_kind:     by_value
      - .offset:         176
        .size:           4
        .value_kind:     hidden_block_count_x
      - .offset:         180
        .size:           4
        .value_kind:     hidden_block_count_y
      - .offset:         184
        .size:           4
        .value_kind:     hidden_block_count_z
      - .offset:         188
        .size:           2
        .value_kind:     hidden_group_size_x
      - .offset:         190
        .size:           2
        .value_kind:     hidden_group_size_y
      - .offset:         192
        .size:           2
        .value_kind:     hidden_group_size_z
      - .offset:         194
        .size:           2
        .value_kind:     hidden_remainder_x
      - .offset:         196
        .size:           2
        .value_kind:     hidden_remainder_y
      - .offset:         198
        .size:           2
        .value_kind:     hidden_remainder_z
      - .offset:         216
        .size:           8
        .value_kind:     hidden_global_offset_x
      - .offset:         224
        .size:           8
        .value_kind:     hidden_global_offset_y
      - .offset:         232
        .size:           8
        .value_kind:     hidden_global_offset_z
      - .offset:         240
        .size:           2
        .value_kind:     hidden_grid_dims
    .group_segment_fixed_size: 0
    .kernarg_segment_align: 8
    .kernarg_segment_size: 432
    .language:       OpenCL C
    .language_version:
      - 2
      - 0
    .max_flat_workgroup_size: 1024
    .name:           _ZN9rocsolver6v33100L11gemm_kernelI19rocblas_complex_numIdElPKS3_PS3_PKS6_S6_EEvT0_S9_S9_T1_bT2_lS9_S9_lbT3_lS9_S9_lSA_T4_lS9_S9_l
    .private_segment_fixed_size: 0
    .sgpr_count:     45
    .sgpr_spill_count: 0
    .symbol:         _ZN9rocsolver6v33100L11gemm_kernelI19rocblas_complex_numIdElPKS3_PS3_PKS6_S6_EEvT0_S9_S9_T1_bT2_lS9_S9_lbT3_lS9_S9_lSA_T4_lS9_S9_l.kd
    .uniform_work_group_size: 1
    .uses_dynamic_stack: false
    .vgpr_count:     22
    .vgpr_spill_count: 0
    .wavefront_size: 32
  - .args:
      - .offset:         0
        .size:           8
        .value_kind:     by_value
      - .offset:         8
        .size:           8
        .value_kind:     by_value
      - .offset:         16
        .size:           8
        .value_kind:     by_value
      - .offset:         24
        .size:           16
        .value_kind:     by_value
      - .offset:         40
        .size:           1
        .value_kind:     by_value
      - .address_space:  global
        .offset:         48
        .size:           8
        .value_kind:     global_buffer
      - .offset:         56
        .size:           8
        .value_kind:     by_value
      - .offset:         64
        .size:           8
        .value_kind:     by_value
      - .offset:         72
        .size:           8
        .value_kind:     by_value
      - .offset:         80
        .size:           8
        .value_kind:     by_value
      - .offset:         88
        .size:           1
        .value_kind:     by_value
      - .address_space:  global
        .offset:         96
        .size:           8
        .value_kind:     global_buffer
      - .offset:         104
        .size:           8
        .value_kind:     by_value
      - .offset:         112
        .size:           8
        .value_kind:     by_value
      - .offset:         120
        .size:           8
        .value_kind:     by_value
      - .offset:         128
        .size:           8
        .value_kind:     by_value
      - .offset:         136
        .size:           16
        .value_kind:     by_value
      - .address_space:  global
        .offset:         152
        .size:           8
        .value_kind:     global_buffer
      - .offset:         160
        .size:           8
        .value_kind:     by_value
      - .offset:         168
        .size:           8
        .value_kind:     by_value
      - .offset:         176
        .size:           8
        .value_kind:     by_value
      - .offset:         184
        .size:           8
        .value_kind:     by_value
      - .offset:         192
        .size:           4
        .value_kind:     hidden_block_count_x
      - .offset:         196
        .size:           4
        .value_kind:     hidden_block_count_y
      - .offset:         200
        .size:           4
        .value_kind:     hidden_block_count_z
      - .offset:         204
        .size:           2
        .value_kind:     hidden_group_size_x
      - .offset:         206
        .size:           2
        .value_kind:     hidden_group_size_y
      - .offset:         208
        .size:           2
        .value_kind:     hidden_group_size_z
      - .offset:         210
        .size:           2
        .value_kind:     hidden_remainder_x
      - .offset:         212
        .size:           2
        .value_kind:     hidden_remainder_y
      - .offset:         214
        .size:           2
        .value_kind:     hidden_remainder_z
      - .offset:         232
        .size:           8
        .value_kind:     hidden_global_offset_x
      - .offset:         240
        .size:           8
        .value_kind:     hidden_global_offset_y
      - .offset:         248
        .size:           8
        .value_kind:     hidden_global_offset_z
      - .offset:         256
        .size:           2
        .value_kind:     hidden_grid_dims
    .group_segment_fixed_size: 0
    .kernarg_segment_align: 8
    .kernarg_segment_size: 448
    .language:       OpenCL C
    .language_version:
      - 2
      - 0
    .max_flat_workgroup_size: 1024
    .name:           _ZN9rocsolver6v33100L11gemm_kernelI19rocblas_complex_numIdElS3_PS3_PKS4_S4_EEvT0_S7_S7_T1_bT2_lS7_S7_lbT3_lS7_S7_lS8_T4_lS7_S7_l
    .private_segment_fixed_size: 0
    .sgpr_count:     49
    .sgpr_spill_count: 0
    .symbol:         _ZN9rocsolver6v33100L11gemm_kernelI19rocblas_complex_numIdElS3_PS3_PKS4_S4_EEvT0_S7_S7_T1_bT2_lS7_S7_lbT3_lS7_S7_lS8_T4_lS7_S7_l.kd
    .uniform_work_group_size: 1
    .uses_dynamic_stack: false
    .vgpr_count:     22
    .vgpr_spill_count: 0
    .wavefront_size: 32
  - .args:
      - .offset:         0
        .size:           4
        .value_kind:     by_value
      - .offset:         4
        .size:           4
        .value_kind:     by_value
      - .offset:         8
        .size:           8
        .value_kind:     by_value
      - .offset:         16
        .size:           8
        .value_kind:     by_value
      - .offset:         24
        .size:           8
        .value_kind:     by_value
      - .address_space:  global
        .offset:         32
        .size:           8
        .value_kind:     global_buffer
      - .address_space:  global
        .offset:         40
        .size:           8
        .value_kind:     global_buffer
      - .offset:         48
        .size:           8
        .value_kind:     by_value
      - .offset:         56
        .size:           8
        .value_kind:     by_value
      - .offset:         64
        .size:           8
        .value_kind:     by_value
      - .offset:         72
        .size:           8
        .value_kind:     by_value
      - .address_space:  global
        .offset:         80
        .size:           8
        .value_kind:     global_buffer
      - .offset:         88
        .size:           8
        .value_kind:     by_value
      - .offset:         96
        .size:           8
        .value_kind:     by_value
      - .offset:         104
        .size:           8
        .value_kind:     by_value
      - .offset:         112
        .size:           8
        .value_kind:     by_value
      - .address_space:  global
        .offset:         120
        .size:           8
        .value_kind:     global_buffer
      - .address_space:  global
        .offset:         128
        .size:           8
        .value_kind:     global_buffer
      - .offset:         136
        .size:           8
        .value_kind:     by_value
      - .offset:         144
        .size:           8
        .value_kind:     by_value
      - .offset:         152
        .size:           8
        .value_kind:     by_value
      - .offset:         160
        .size:           8
        .value_kind:     by_value
    .group_segment_fixed_size: 0
    .kernarg_segment_align: 8
    .kernarg_segment_size: 168
    .language:       OpenCL C
    .language_version:
      - 2
      - 0
    .max_flat_workgroup_size: 1024
    .name:           _ZN9rocsolver6v33100L16mfma_gemm_kernelI19rocblas_complex_numIdElPKS3_PS3_S6_PKS6_EEv18rocblas_operation_S9_T0_SA_SA_T1_T2_lSA_SA_lT3_lSA_SA_lSB_T4_lSA_SA_l
    .private_segment_fixed_size: 0
    .sgpr_count:     0
    .sgpr_spill_count: 0
    .symbol:         _ZN9rocsolver6v33100L16mfma_gemm_kernelI19rocblas_complex_numIdElPKS3_PS3_S6_PKS6_EEv18rocblas_operation_S9_T0_SA_SA_T1_T2_lSA_SA_lT3_lSA_SA_lSB_T4_lSA_SA_l.kd
    .uniform_work_group_size: 1
    .uses_dynamic_stack: false
    .vgpr_count:     0
    .vgpr_spill_count: 0
    .wavefront_size: 32
  - .args:
      - .offset:         0
        .size:           4
        .value_kind:     by_value
      - .offset:         4
        .size:           4
        .value_kind:     by_value
      - .offset:         8
        .size:           8
        .value_kind:     by_value
      - .offset:         16
        .size:           8
        .value_kind:     by_value
      - .offset:         24
        .size:           8
        .value_kind:     by_value
      - .offset:         32
        .size:           16
        .value_kind:     by_value
      - .address_space:  global
        .offset:         48
        .size:           8
        .value_kind:     global_buffer
      - .offset:         56
        .size:           8
        .value_kind:     by_value
      - .offset:         64
        .size:           8
        .value_kind:     by_value
      - .offset:         72
        .size:           8
        .value_kind:     by_value
      - .offset:         80
        .size:           8
        .value_kind:     by_value
      - .address_space:  global
        .offset:         88
        .size:           8
        .value_kind:     global_buffer
      - .offset:         96
        .size:           8
        .value_kind:     by_value
      - .offset:         104
        .size:           8
        .value_kind:     by_value
      - .offset:         112
        .size:           8
        .value_kind:     by_value
      - .offset:         120
        .size:           8
        .value_kind:     by_value
      - .offset:         128
        .size:           16
        .value_kind:     by_value
      - .address_space:  global
        .offset:         144
        .size:           8
        .value_kind:     global_buffer
      - .offset:         152
        .size:           8
        .value_kind:     by_value
      - .offset:         160
        .size:           8
        .value_kind:     by_value
      - .offset:         168
        .size:           8
        .value_kind:     by_value
      - .offset:         176
        .size:           8
        .value_kind:     by_value
    .group_segment_fixed_size: 0
    .kernarg_segment_align: 8
    .kernarg_segment_size: 184
    .language:       OpenCL C
    .language_version:
      - 2
      - 0
    .max_flat_workgroup_size: 1024
    .name:           _ZN9rocsolver6v33100L16mfma_gemm_kernelI19rocblas_complex_numIdElS3_PS3_S4_PKS4_EEv18rocblas_operation_S7_T0_S8_S8_T1_T2_lS8_S8_lT3_lS8_S8_lS9_T4_lS8_S8_l
    .private_segment_fixed_size: 0
    .sgpr_count:     0
    .sgpr_spill_count: 0
    .symbol:         _ZN9rocsolver6v33100L16mfma_gemm_kernelI19rocblas_complex_numIdElS3_PS3_S4_PKS4_EEv18rocblas_operation_S7_T0_S8_S8_T1_T2_lS8_S8_lT3_lS8_S8_lS9_T4_lS8_S8_l.kd
    .uniform_work_group_size: 1
    .uses_dynamic_stack: false
    .vgpr_count:     0
    .vgpr_spill_count: 0
    .wavefront_size: 32
  - .args:
      - .offset:         0
        .size:           8
        .value_kind:     by_value
      - .offset:         8
        .size:           8
        .value_kind:     by_value
      - .offset:         16
        .size:           8
        .value_kind:     by_value
      - .address_space:  global
        .offset:         24
        .size:           8
        .value_kind:     global_buffer
      - .offset:         32
        .size:           1
        .value_kind:     by_value
      - .address_space:  global
        .offset:         40
        .size:           8
        .value_kind:     global_buffer
      - .offset:         48
        .size:           8
        .value_kind:     by_value
      - .offset:         56
        .size:           8
        .value_kind:     by_value
      - .offset:         64
        .size:           8
        .value_kind:     by_value
      - .offset:         72
        .size:           8
        .value_kind:     by_value
      - .offset:         80
        .size:           1
        .value_kind:     by_value
      - .address_space:  global
        .offset:         88
        .size:           8
        .value_kind:     global_buffer
      - .offset:         96
        .size:           8
        .value_kind:     by_value
      - .offset:         104
        .size:           8
        .value_kind:     by_value
      - .offset:         112
        .size:           8
        .value_kind:     by_value
      - .offset:         120
        .size:           8
        .value_kind:     by_value
      - .address_space:  global
        .offset:         128
        .size:           8
        .value_kind:     global_buffer
      - .address_space:  global
        .offset:         136
        .size:           8
        .value_kind:     global_buffer
      - .offset:         144
        .size:           8
        .value_kind:     by_value
      - .offset:         152
        .size:           8
        .value_kind:     by_value
      - .offset:         160
        .size:           8
        .value_kind:     by_value
      - .offset:         168
        .size:           8
        .value_kind:     by_value
      - .offset:         176
        .size:           4
        .value_kind:     hidden_block_count_x
      - .offset:         180
        .size:           4
        .value_kind:     hidden_block_count_y
      - .offset:         184
        .size:           4
        .value_kind:     hidden_block_count_z
      - .offset:         188
        .size:           2
        .value_kind:     hidden_group_size_x
      - .offset:         190
        .size:           2
        .value_kind:     hidden_group_size_y
      - .offset:         192
        .size:           2
        .value_kind:     hidden_group_size_z
      - .offset:         194
        .size:           2
        .value_kind:     hidden_remainder_x
      - .offset:         196
        .size:           2
        .value_kind:     hidden_remainder_y
      - .offset:         198
        .size:           2
        .value_kind:     hidden_remainder_z
      - .offset:         216
        .size:           8
        .value_kind:     hidden_global_offset_x
      - .offset:         224
        .size:           8
        .value_kind:     hidden_global_offset_y
      - .offset:         232
        .size:           8
        .value_kind:     hidden_global_offset_z
      - .offset:         240
        .size:           2
        .value_kind:     hidden_grid_dims
    .group_segment_fixed_size: 0
    .kernarg_segment_align: 8
    .kernarg_segment_size: 432
    .language:       OpenCL C
    .language_version:
      - 2
      - 0
    .max_flat_workgroup_size: 1024
    .name:           _ZN9rocsolver6v33100L11gemm_kernelI19rocblas_complex_numIdElPKS3_PS3_S6_PKS6_EEvT0_S9_S9_T1_bT2_lS9_S9_lbT3_lS9_S9_lSA_T4_lS9_S9_l
    .private_segment_fixed_size: 0
    .sgpr_count:     41
    .sgpr_spill_count: 0
    .symbol:         _ZN9rocsolver6v33100L11gemm_kernelI19rocblas_complex_numIdElPKS3_PS3_S6_PKS6_EEvT0_S9_S9_T1_bT2_lS9_S9_lbT3_lS9_S9_lSA_T4_lS9_S9_l.kd
    .uniform_work_group_size: 1
    .uses_dynamic_stack: false
    .vgpr_count:     22
    .vgpr_spill_count: 0
    .wavefront_size: 32
  - .args:
      - .offset:         0
        .size:           8
        .value_kind:     by_value
      - .offset:         8
        .size:           8
        .value_kind:     by_value
      - .offset:         16
        .size:           8
        .value_kind:     by_value
      - .offset:         24
        .size:           16
        .value_kind:     by_value
      - .offset:         40
        .size:           1
        .value_kind:     by_value
      - .address_space:  global
        .offset:         48
        .size:           8
        .value_kind:     global_buffer
      - .offset:         56
        .size:           8
        .value_kind:     by_value
      - .offset:         64
        .size:           8
        .value_kind:     by_value
      - .offset:         72
        .size:           8
        .value_kind:     by_value
      - .offset:         80
        .size:           8
        .value_kind:     by_value
      - .offset:         88
        .size:           1
        .value_kind:     by_value
      - .address_space:  global
        .offset:         96
        .size:           8
        .value_kind:     global_buffer
      - .offset:         104
        .size:           8
        .value_kind:     by_value
      - .offset:         112
        .size:           8
        .value_kind:     by_value
      - .offset:         120
        .size:           8
        .value_kind:     by_value
      - .offset:         128
        .size:           8
        .value_kind:     by_value
      - .offset:         136
        .size:           16
        .value_kind:     by_value
      - .address_space:  global
        .offset:         152
        .size:           8
        .value_kind:     global_buffer
      - .offset:         160
        .size:           8
        .value_kind:     by_value
      - .offset:         168
        .size:           8
        .value_kind:     by_value
      - .offset:         176
        .size:           8
        .value_kind:     by_value
      - .offset:         184
        .size:           8
        .value_kind:     by_value
      - .offset:         192
        .size:           4
        .value_kind:     hidden_block_count_x
      - .offset:         196
        .size:           4
        .value_kind:     hidden_block_count_y
      - .offset:         200
        .size:           4
        .value_kind:     hidden_block_count_z
      - .offset:         204
        .size:           2
        .value_kind:     hidden_group_size_x
      - .offset:         206
        .size:           2
        .value_kind:     hidden_group_size_y
      - .offset:         208
        .size:           2
        .value_kind:     hidden_group_size_z
      - .offset:         210
        .size:           2
        .value_kind:     hidden_remainder_x
      - .offset:         212
        .size:           2
        .value_kind:     hidden_remainder_y
      - .offset:         214
        .size:           2
        .value_kind:     hidden_remainder_z
      - .offset:         232
        .size:           8
        .value_kind:     hidden_global_offset_x
      - .offset:         240
        .size:           8
        .value_kind:     hidden_global_offset_y
      - .offset:         248
        .size:           8
        .value_kind:     hidden_global_offset_z
      - .offset:         256
        .size:           2
        .value_kind:     hidden_grid_dims
    .group_segment_fixed_size: 0
    .kernarg_segment_align: 8
    .kernarg_segment_size: 448
    .language:       OpenCL C
    .language_version:
      - 2
      - 0
    .max_flat_workgroup_size: 1024
    .name:           _ZN9rocsolver6v33100L11gemm_kernelI19rocblas_complex_numIdElS3_PS3_S4_PKS4_EEvT0_S7_S7_T1_bT2_lS7_S7_lbT3_lS7_S7_lS8_T4_lS7_S7_l
    .private_segment_fixed_size: 0
    .sgpr_count:     45
    .sgpr_spill_count: 0
    .symbol:         _ZN9rocsolver6v33100L11gemm_kernelI19rocblas_complex_numIdElS3_PS3_S4_PKS4_EEvT0_S7_S7_T1_bT2_lS7_S7_lbT3_lS7_S7_lS8_T4_lS7_S7_l.kd
    .uniform_work_group_size: 1
    .uses_dynamic_stack: false
    .vgpr_count:     22
    .vgpr_spill_count: 0
    .wavefront_size: 32
amdhsa.target:   amdgcn-amd-amdhsa--gfx1250
amdhsa.version:
  - 1
  - 2
...

	.end_amdgpu_metadata
